;; amdgpu-corpus repo=triton-lang/triton kind=triton arch=gfx1201 opt=O3 lang=triton
	.amdgcn_target "amdgcn-amd-amdhsa--gfx1201"
	.amdhsa_code_object_version 5
	.text
	.globl	matmul_kernel_persistent        ; -- Begin function matmul_kernel_persistent
	.p2align	8
	.type	matmul_kernel_persistent,@function
matmul_kernel_persistent:               ; @matmul_kernel_persistent
.Lfunc_begin0:
	.file	1 "/root/src/amdgpu-assembly/repos/triton-lang__triton-aot" "persistent_matmul.py"
	.loc	1 19 0                          ; persistent_matmul.py:19:0
	.cfi_sections .debug_frame
	.cfi_startproc
; %bb.0:
	s_clause 0x2
	s_load_b128 s[4:7], s[0:1], 0x10
	s_load_b32 s62, s[0:1], 0x20
	s_load_b64 s[2:3], s[0:1], 0x34
.Ltmp0:
	.loc	1 74 25 prologue_end            ; persistent_matmul.py:74:25
	s_bfe_u32 s58, ttmp8, 0x50019
	s_delay_alu instid0(SALU_CYCLE_1)
	.loc	1 40 35                         ; persistent_matmul.py:40:35
	s_lshl_b32 s8, s58, 5
	s_bfe_u32 s22, s58, 0x10001
	v_and_or_b32 v1, v0, 31, s8
	s_or_b32 s23, s22, 2
	s_or_b32 s24, s22, 4
	;; [unrolled: 1-line block ×4, first 2 shown]
	.loc	1 47 41                         ; persistent_matmul.py:47:41
	v_and_b32_e32 v177, 63, v1
	.loc	1 40 35                         ; persistent_matmul.py:40:35
	s_or_b32 s27, s22, 10
	s_or_b32 s28, s22, 12
	;; [unrolled: 1-line block ×3, first 2 shown]
	.loc	1 47 41                         ; persistent_matmul.py:47:41
	s_or_b32 s30, s22, 16
	s_or_b32 s31, s22, 18
	;; [unrolled: 1-line block ×5, first 2 shown]
.Ltmp1:
	.file	2 "/root/.local/lib/python3.13/site-packages/triton/language" "standard.py"
	.loc	2 43 17                         ; standard.py:43:17 @[ persistent_matmul.py:31:27 ]
	s_wait_kmcnt 0x0
	s_add_co_i32 s9, s6, 63
.Ltmp2:
	.loc	2 43 17 is_stmt 0               ; standard.py:43:17 @[ persistent_matmul.py:32:27 ]
	s_add_co_i32 s10, s7, 63
.Ltmp3:
	.loc	2 43 30                         ; standard.py:43:30 @[ persistent_matmul.py:31:27 ]
	s_wait_alu depctr_sa_sdst(0)
	s_ashr_i32 s11, s9, 31
.Ltmp4:
	.loc	2 43 30                         ; standard.py:43:30 @[ persistent_matmul.py:32:27 ]
	s_ashr_i32 s12, s10, 31
.Ltmp5:
	.loc	2 43 30                         ; standard.py:43:30 @[ persistent_matmul.py:31:27 ]
	s_lshr_b32 s11, s11, 26
.Ltmp6:
	.loc	2 43 30                         ; standard.py:43:30 @[ persistent_matmul.py:32:27 ]
	s_lshr_b32 s12, s12, 26
.Ltmp7:
	.loc	2 43 30                         ; standard.py:43:30 @[ persistent_matmul.py:31:27 ]
	s_add_co_i32 s9, s9, s11
.Ltmp8:
	.loc	2 43 30                         ; standard.py:43:30 @[ persistent_matmul.py:32:27 ]
	s_add_co_i32 s10, s10, s12
.Ltmp9:
	.loc	2 43 30                         ; standard.py:43:30 @[ persistent_matmul.py:31:27 ]
	s_wait_alu depctr_sa_sdst(0)
	s_ashr_i32 s36, s9, 6
.Ltmp10:
	.loc	2 43 30                         ; standard.py:43:30 @[ persistent_matmul.py:32:27 ]
	s_ashr_i32 s9, s10, 6
.Ltmp11:
	.loc	1 55 24 is_stmt 1               ; persistent_matmul.py:55:24
	s_add_co_i32 s8, s62, 30
	.loc	1 41 38                         ; persistent_matmul.py:41:38
	s_wait_alu depctr_sa_sdst(0)
	s_lshl_b32 s38, s9, 3
	.loc	1 47 41                         ; persistent_matmul.py:47:41
	s_or_b32 s39, s22, 26
	s_or_b32 s40, s22, 28
	;; [unrolled: 1-line block ×19, first 2 shown]
	.loc	1 34 28                         ; persistent_matmul.py:34:28
	s_mul_i32 s37, s9, s36
	.loc	1 55 24                         ; persistent_matmul.py:55:24
	s_cmp_gt_u32 s8, 30
	s_mov_b32 s8, -1
	s_cbranch_scc0 .LBB0_207
; %bb.1:
	.loc	1 43 59                         ; persistent_matmul.py:43:59
	s_sub_co_i32 s8, s37, ttmp9
.Ltmp12:
	.loc	2 43 17 is_stmt 0               ; standard.py:43:17 @[ persistent_matmul.py:33:25 ]
	s_add_co_i32 s9, s62, 15
.Ltmp13:
	.loc	1 43 59                         ; persistent_matmul.py:43:59
	s_wait_alu depctr_sa_sdst(0)
	s_mul_hi_i32 s10, s8, 0x4ec4ec4f
.Ltmp14:
	.loc	2 43 30                         ; standard.py:43:30 @[ persistent_matmul.py:33:25 ]
	s_ashr_i32 s11, s9, 31
.Ltmp15:
	.loc	1 43 59                         ; persistent_matmul.py:43:59
	s_lshr_b32 s12, s10, 31
	s_ashr_i32 s10, s10, 5
.Ltmp16:
	.loc	2 43 30                         ; standard.py:43:30 @[ persistent_matmul.py:33:25 ]
	s_lshr_b32 s11, s11, 28
.Ltmp17:
	.loc	1 43 59                         ; persistent_matmul.py:43:59
	s_add_co_i32 s13, s10, s12
.Ltmp18:
	.loc	2 43 30                         ; standard.py:43:30 @[ persistent_matmul.py:33:25 ]
	s_add_co_i32 s9, s9, s11
.Ltmp19:
	.loc	1 43 59                         ; persistent_matmul.py:43:59
	s_mulk_i32 s13, 0x68
.Ltmp20:
	.loc	2 43 30                         ; standard.py:43:30 @[ persistent_matmul.py:33:25 ]
	s_wait_alu depctr_sa_sdst(0)
	s_ashr_i32 s9, s9, 4
.Ltmp21:
	.loc	1 43 59                         ; persistent_matmul.py:43:59
	s_cmp_lg_u32 s8, s13
	.loc	1 47 41 is_stmt 1               ; persistent_matmul.py:47:41
	v_bfe_u32 v183, v1, 4, 3
	.loc	1 43 59                         ; persistent_matmul.py:43:59
	s_cselect_b32 s11, -1, 0
	s_cmp_gt_i32 s8, -1
	.loc	1 40 35                         ; persistent_matmul.py:40:35
	v_and_b32_e32 v182, 15, v0
	.loc	1 43 59                         ; persistent_matmul.py:43:59
	s_cselect_b32 s8, -1, 0
	s_mov_b32 s17, 0
	s_wait_alu depctr_sa_sdst(0)
	s_and_b32 s8, s8, s11
	s_add_co_ci_u32 s64, s10, s12
	s_max_i32 s65, s9, 1
	v_mov_b32_e32 v3, 0
	s_mul_i32 s64, s64, s65
	s_delay_alu instid0(SALU_CYCLE_1)
	s_cmp_gt_i32 s64, 0
	s_cselect_b32 s61, -1, 0
.Ltmp22:
	.loc	1 10 26                         ; persistent_matmul.py:10:26 @[ persistent_matmul.py:44:88 ]
	s_abs_i32 s59, s38
	s_abs_i32 s10, ttmp9
	s_cvt_f32_u32 s8, s59
	s_sub_co_i32 s9, 0, s59
	s_ashr_i32 s12, ttmp9, 31
	s_ashr_i32 s60, s38, 31
	s_wait_alu depctr_sa_sdst(0)
	v_rcp_iflag_f32_e32 v2, s8
	s_xor_b32 s13, s12, s60
	s_delay_alu instid0(TRANS32_DEP_1) | instskip(SKIP_2) | instid1(SALU_CYCLE_2)
	v_readfirstlane_b32 s8, v2
	s_mul_f32 s8, s8, 0x4f7ffffe
	s_wait_alu depctr_sa_sdst(0)
	s_cvt_u32_f32 s8, s8
	s_wait_alu depctr_sa_sdst(0)
	s_delay_alu instid0(SALU_CYCLE_2)
	s_mul_i32 s9, s9, s8
	s_wait_alu depctr_sa_sdst(0)
	s_mul_hi_u32 s9, s8, s9
	s_wait_alu depctr_sa_sdst(0)
	s_add_co_i32 s8, s8, s9
	s_wait_alu depctr_sa_sdst(0)
	s_mul_hi_u32 s9, s10, s8
	s_wait_alu depctr_sa_sdst(0)
	s_mul_i32 s11, s9, s59
	s_add_co_i32 s14, s9, 1
	s_sub_co_i32 s11, s10, s11
	s_delay_alu instid0(SALU_CYCLE_1)
	s_sub_co_i32 s15, s11, s59
	s_cmp_ge_u32 s11, s59
	s_cselect_b32 s9, s14, s9
	s_cselect_b32 s11, s15, s11
	s_wait_alu depctr_sa_sdst(0)
	s_add_co_i32 s14, s9, 1
	s_cmp_ge_u32 s11, s59
	s_cselect_b32 s9, s14, s9
	s_wait_alu depctr_sa_sdst(0)
	s_xor_b32 s9, s9, s13
	s_wait_alu depctr_sa_sdst(0)
	s_sub_co_i32 s14, s9, s13
	s_delay_alu instid0(SALU_CYCLE_1) | instskip(NEXT) | instid1(SALU_CYCLE_1)
	.loc	1 11 29                         ; persistent_matmul.py:11:29 @[ persistent_matmul.py:44:88 ]
	s_lshl_b32 s13, s14, 3
	.loc	1 12 35                         ; persistent_matmul.py:12:35 @[ persistent_matmul.py:44:88 ]
	s_sub_co_i32 s9, s36, s13
	.loc	1 12 48 is_stmt 0               ; persistent_matmul.py:12:48 @[ persistent_matmul.py:44:88 ]
	s_wait_alu depctr_sa_sdst(0)
	s_min_i32 s66, s9, 8
	s_delay_alu instid0(SALU_CYCLE_1) | instskip(SKIP_3) | instid1(SALU_CYCLE_2)
	.loc	1 13 37 is_stmt 1               ; persistent_matmul.py:13:37 @[ persistent_matmul.py:44:88 ]
	s_abs_i32 s9, s66
	s_wait_alu depctr_sa_sdst(0)
	s_cvt_f32_u32 s11, s9
	s_sub_co_i32 s15, 0, s9
	v_rcp_iflag_f32_e32 v2, s11
	s_delay_alu instid0(TRANS32_DEP_1) | instskip(SKIP_2) | instid1(SALU_CYCLE_2)
	v_readfirstlane_b32 s11, v2
	s_mul_f32 s11, s11, 0x4f7ffffe
	s_wait_alu depctr_sa_sdst(0)
	s_cvt_u32_f32 s11, s11
	s_wait_alu depctr_sa_sdst(0)
	s_delay_alu instid0(SALU_CYCLE_2) | instskip(NEXT) | instid1(SALU_CYCLE_1)
	s_mul_i32 s15, s15, s11
	s_mul_hi_u32 s15, s11, s15
	s_delay_alu instid0(SALU_CYCLE_1) | instskip(NEXT) | instid1(SALU_CYCLE_1)
	s_add_co_i32 s16, s11, s15
	s_mul_hi_u32 s11, s10, s16
	s_wait_alu depctr_sa_sdst(0)
	s_mul_i32 s11, s11, s9
	s_wait_alu depctr_sa_sdst(0)
	s_sub_co_i32 s10, s10, s11
	s_wait_alu depctr_sa_sdst(0)
	s_sub_co_i32 s11, s10, s9
	s_cmp_ge_u32 s10, s9
	s_wait_alu depctr_sa_sdst(0)
	s_cselect_b32 s10, s11, s10
	s_wait_alu depctr_sa_sdst(0)
	s_sub_co_i32 s11, s10, s9
	s_cmp_ge_u32 s10, s9
	s_wait_alu depctr_sa_sdst(0)
	s_cselect_b32 s15, s11, s10
	s_load_b64 s[10:11], s[0:1], 0x24
	s_xor_b32 s15, s15, s12
	s_delay_alu instid0(SALU_CYCLE_1) | instskip(NEXT) | instid1(SALU_CYCLE_1)
	s_sub_co_i32 s12, s15, s12
	.loc	1 13 27 is_stmt 0               ; persistent_matmul.py:13:27 @[ persistent_matmul.py:44:88 ]
	s_add_co_i32 s13, s13, s12
	s_delay_alu instid0(SALU_CYCLE_1) | instskip(SKIP_2) | instid1(VALU_DEP_1)
.Ltmp23:
	.loc	1 45 26 is_stmt 1               ; persistent_matmul.py:45:26
	s_lshl_b32 s20, s13, 6
	s_load_b64 s[12:13], s[0:1], 0x0
	.loc	1 47 28                         ; persistent_matmul.py:47:28
	v_or_b32_e32 v2, s20, v183
	.loc	1 49 37                         ; persistent_matmul.py:49:37
	v_cmp_gt_i32_e32 vcc_lo, s6, v2
	.loc	1 49 49 is_stmt 0               ; persistent_matmul.py:49:49
	v_cndmask_b32_e32 v2, 0, v2, vcc_lo
	.loc	1 57 79 is_stmt 1               ; persistent_matmul.py:57:79
	s_wait_kmcnt 0x0
	v_mul_lo_u32 v10, s11, v182
	.loc	1 60 64                         ; persistent_matmul.py:60:64
	v_cmp_gt_i32_e32 vcc_lo, s62, v182
	s_delay_alu instid0(VALU_DEP_3) | instskip(SKIP_2) | instid1(SALU_CYCLE_1)
	.loc	1 57 49                         ; persistent_matmul.py:57:49
	v_mul_lo_u32 v187, v2, s10
	v_mov_b32_e32 v2, 0
	.loc	1 43 59                         ; persistent_matmul.py:43:59
	s_and_b32 s67, vcc_lo, s61
	.loc	1 60 24                         ; persistent_matmul.py:60:24
	s_and_saveexec_b32 s15, s67
	s_cbranch_execz .LBB0_3
; %bb.2:
	.loc	1 0 24 is_stmt 0                ; persistent_matmul.py:0:24
	s_delay_alu instid0(VALU_DEP_2) | instskip(NEXT) | instid1(VALU_DEP_1)
	v_add_nc_u32_e32 v3, v187, v10
	v_ashrrev_i32_e32 v4, 31, v3
	s_delay_alu instid0(VALU_DEP_1) | instskip(NEXT) | instid1(VALU_DEP_1)
	v_lshlrev_b64_e32 v[3:4], 2, v[3:4]
	v_add_co_u32 v3, vcc_lo, s12, v3
	s_wait_alu depctr_va_vcc(0)
	s_delay_alu instid0(VALU_DEP_2)
	v_add_co_ci_u32_e64 v4, null, s13, v4, vcc_lo
	.loc	1 60 24                         ; persistent_matmul.py:60:24
	global_load_b32 v3, v[3:4], off
.LBB0_3:
	.loc	1 0 24                          ; persistent_matmul.py:0:24
	s_or_b32 exec_lo, exec_lo, s15
	.loc	1 47 41 is_stmt 1               ; persistent_matmul.py:47:41
	v_or_b32_e32 v184, 8, v183
	s_delay_alu instid0(VALU_DEP_1) | instskip(NEXT) | instid1(VALU_DEP_1)
	.loc	1 47 28 is_stmt 0               ; persistent_matmul.py:47:28
	v_or_b32_e32 v4, s20, v184
	.loc	1 49 37 is_stmt 1               ; persistent_matmul.py:49:37
	v_cmp_gt_i32_e32 vcc_lo, s6, v4
	.loc	1 49 49 is_stmt 0               ; persistent_matmul.py:49:49
	s_wait_alu depctr_va_vcc(0)
	v_cndmask_b32_e32 v4, 0, v4, vcc_lo
	s_delay_alu instid0(VALU_DEP_1)
	.loc	1 57 49 is_stmt 1               ; persistent_matmul.py:57:49
	v_mul_lo_u32 v190, v4, s10
	.loc	1 60 24                         ; persistent_matmul.py:60:24
	s_and_saveexec_b32 s15, s67
	s_cbranch_execz .LBB0_5
; %bb.4:
	.loc	1 0 24 is_stmt 0                ; persistent_matmul.py:0:24
	s_delay_alu instid0(VALU_DEP_1) | instskip(NEXT) | instid1(VALU_DEP_1)
	.loc	1 57 61 is_stmt 1               ; persistent_matmul.py:57:61
	v_add_nc_u32_e32 v4, v190, v10
	.loc	1 57 30 is_stmt 0               ; persistent_matmul.py:57:30
	v_ashrrev_i32_e32 v5, 31, v4
	s_delay_alu instid0(VALU_DEP_1) | instskip(NEXT) | instid1(VALU_DEP_1)
	v_lshlrev_b64_e32 v[4:5], 2, v[4:5]
	v_add_co_u32 v4, vcc_lo, s12, v4
	s_wait_alu depctr_va_vcc(0)
	s_delay_alu instid0(VALU_DEP_2)
	v_add_co_ci_u32_e64 v5, null, s13, v5, vcc_lo
	.loc	1 60 24 is_stmt 1               ; persistent_matmul.py:60:24
	global_load_b32 v2, v[4:5], off
.LBB0_5:
	.loc	1 0 24 is_stmt 0                ; persistent_matmul.py:0:24
	s_or_b32 exec_lo, exec_lo, s15
	.loc	1 47 41 is_stmt 1               ; persistent_matmul.py:47:41
	v_or_b32_e32 v185, 16, v183
	v_mov_b32_e32 v5, 0
	s_delay_alu instid0(VALU_DEP_2) | instskip(NEXT) | instid1(VALU_DEP_1)
	.loc	1 47 28 is_stmt 0               ; persistent_matmul.py:47:28
	v_or_b32_e32 v4, s20, v185
	.loc	1 49 37 is_stmt 1               ; persistent_matmul.py:49:37
	v_cmp_gt_i32_e32 vcc_lo, s6, v4
	.loc	1 49 49 is_stmt 0               ; persistent_matmul.py:49:49
	s_wait_alu depctr_va_vcc(0)
	v_cndmask_b32_e32 v4, 0, v4, vcc_lo
	s_delay_alu instid0(VALU_DEP_1)
	.loc	1 57 49 is_stmt 1               ; persistent_matmul.py:57:49
	v_mul_lo_u32 v191, v4, s10
	v_mov_b32_e32 v4, 0
	.loc	1 60 24                         ; persistent_matmul.py:60:24
	s_and_saveexec_b32 s15, s67
	s_cbranch_execz .LBB0_7
; %bb.6:
	.loc	1 0 24 is_stmt 0                ; persistent_matmul.py:0:24
	s_delay_alu instid0(VALU_DEP_2) | instskip(NEXT) | instid1(VALU_DEP_1)
	.loc	1 57 61 is_stmt 1               ; persistent_matmul.py:57:61
	v_add_nc_u32_e32 v5, v191, v10
	.loc	1 57 30 is_stmt 0               ; persistent_matmul.py:57:30
	v_ashrrev_i32_e32 v6, 31, v5
	s_delay_alu instid0(VALU_DEP_1) | instskip(NEXT) | instid1(VALU_DEP_1)
	v_lshlrev_b64_e32 v[5:6], 2, v[5:6]
	v_add_co_u32 v5, vcc_lo, s12, v5
	s_wait_alu depctr_va_vcc(0)
	s_delay_alu instid0(VALU_DEP_2)
	v_add_co_ci_u32_e64 v6, null, s13, v6, vcc_lo
	.loc	1 60 24 is_stmt 1               ; persistent_matmul.py:60:24
	global_load_b32 v5, v[5:6], off
.LBB0_7:
	.loc	1 0 24 is_stmt 0                ; persistent_matmul.py:0:24
	s_or_b32 exec_lo, exec_lo, s15
	.loc	1 47 41 is_stmt 1               ; persistent_matmul.py:47:41
	v_or_b32_e32 v186, 24, v183
	s_mul_i32 s14, s14, s38
	s_delay_alu instid0(VALU_DEP_1) | instskip(NEXT) | instid1(VALU_DEP_1)
	.loc	1 47 28 is_stmt 0               ; persistent_matmul.py:47:28
	v_or_b32_e32 v6, s20, v186
	.loc	1 49 37 is_stmt 1               ; persistent_matmul.py:49:37
	v_cmp_gt_i32_e32 vcc_lo, s6, v6
	.loc	1 49 49 is_stmt 0               ; persistent_matmul.py:49:49
	s_wait_alu depctr_va_vcc(0)
	v_cndmask_b32_e32 v6, 0, v6, vcc_lo
	s_delay_alu instid0(VALU_DEP_1)
	.loc	1 57 49 is_stmt 1               ; persistent_matmul.py:57:49
	v_mul_lo_u32 v193, v6, s10
	.loc	1 60 24                         ; persistent_matmul.py:60:24
	s_and_saveexec_b32 s15, s67
	s_cbranch_execz .LBB0_9
; %bb.8:
	.loc	1 0 24 is_stmt 0                ; persistent_matmul.py:0:24
	s_delay_alu instid0(VALU_DEP_1) | instskip(NEXT) | instid1(VALU_DEP_1)
	.loc	1 57 61 is_stmt 1               ; persistent_matmul.py:57:61
	v_add_nc_u32_e32 v6, v193, v10
	.loc	1 57 30 is_stmt 0               ; persistent_matmul.py:57:30
	v_ashrrev_i32_e32 v7, 31, v6
	s_delay_alu instid0(VALU_DEP_1) | instskip(NEXT) | instid1(VALU_DEP_1)
	v_lshlrev_b64_e32 v[6:7], 2, v[6:7]
	v_add_co_u32 v6, vcc_lo, s12, v6
	s_wait_alu depctr_va_vcc(0)
	s_delay_alu instid0(VALU_DEP_2)
	v_add_co_ci_u32_e64 v7, null, s13, v7, vcc_lo
	.loc	1 60 24 is_stmt 1               ; persistent_matmul.py:60:24
	global_load_b32 v4, v[6:7], off
.LBB0_9:
	.loc	1 0 24 is_stmt 0                ; persistent_matmul.py:0:24
	s_or_b32 exec_lo, exec_lo, s15
	.loc	1 47 41 is_stmt 1               ; persistent_matmul.py:47:41
	v_or_b32_e32 v188, 32, v183
	s_sub_co_i32 s68, ttmp9, s14
	v_mov_b32_e32 v7, 0
	s_delay_alu instid0(VALU_DEP_2) | instskip(NEXT) | instid1(VALU_DEP_1)
	.loc	1 47 28 is_stmt 0               ; persistent_matmul.py:47:28
	v_or_b32_e32 v6, s20, v188
	.loc	1 49 37 is_stmt 1               ; persistent_matmul.py:49:37
	v_cmp_gt_i32_e32 vcc_lo, s6, v6
	.loc	1 49 49 is_stmt 0               ; persistent_matmul.py:49:49
	s_wait_alu depctr_va_vcc(0)
	v_cndmask_b32_e32 v6, 0, v6, vcc_lo
	s_delay_alu instid0(VALU_DEP_1)
	.loc	1 57 49 is_stmt 1               ; persistent_matmul.py:57:49
	v_mul_lo_u32 v195, v6, s10
	v_mov_b32_e32 v6, 0
	.loc	1 60 24                         ; persistent_matmul.py:60:24
	s_and_saveexec_b32 s14, s67
	s_cbranch_execz .LBB0_11
; %bb.10:
	.loc	1 0 24 is_stmt 0                ; persistent_matmul.py:0:24
	s_delay_alu instid0(VALU_DEP_2) | instskip(NEXT) | instid1(VALU_DEP_1)
	.loc	1 57 61 is_stmt 1               ; persistent_matmul.py:57:61
	v_add_nc_u32_e32 v7, v195, v10
	.loc	1 57 30 is_stmt 0               ; persistent_matmul.py:57:30
	v_ashrrev_i32_e32 v8, 31, v7
	s_delay_alu instid0(VALU_DEP_1) | instskip(NEXT) | instid1(VALU_DEP_1)
	v_lshlrev_b64_e32 v[7:8], 2, v[7:8]
	v_add_co_u32 v7, vcc_lo, s12, v7
	s_wait_alu depctr_va_vcc(0)
	s_delay_alu instid0(VALU_DEP_2)
	v_add_co_ci_u32_e64 v8, null, s13, v8, vcc_lo
	.loc	1 60 24 is_stmt 1               ; persistent_matmul.py:60:24
	global_load_b32 v7, v[7:8], off
.LBB0_11:
	.loc	1 0 24 is_stmt 0                ; persistent_matmul.py:0:24
	s_or_b32 exec_lo, exec_lo, s14
	.loc	1 47 41 is_stmt 1               ; persistent_matmul.py:47:41
	v_or_b32_e32 v189, 40, v183
	s_abs_i32 s18, s68
	s_delay_alu instid0(VALU_DEP_1) | instskip(NEXT) | instid1(VALU_DEP_1)
	.loc	1 47 28 is_stmt 0               ; persistent_matmul.py:47:28
	v_or_b32_e32 v8, s20, v189
	.loc	1 49 37 is_stmt 1               ; persistent_matmul.py:49:37
	v_cmp_gt_i32_e32 vcc_lo, s6, v8
	.loc	1 49 49 is_stmt 0               ; persistent_matmul.py:49:49
	s_wait_alu depctr_va_vcc(0)
	v_cndmask_b32_e32 v8, 0, v8, vcc_lo
	s_delay_alu instid0(VALU_DEP_1)
	.loc	1 57 49 is_stmt 1               ; persistent_matmul.py:57:49
	v_mul_lo_u32 v196, v8, s10
	.loc	1 60 24                         ; persistent_matmul.py:60:24
	s_and_saveexec_b32 s14, s67
	s_cbranch_execz .LBB0_13
; %bb.12:
	.loc	1 0 24 is_stmt 0                ; persistent_matmul.py:0:24
	s_delay_alu instid0(VALU_DEP_1) | instskip(NEXT) | instid1(VALU_DEP_1)
	.loc	1 57 61 is_stmt 1               ; persistent_matmul.py:57:61
	v_add_nc_u32_e32 v8, v196, v10
	.loc	1 57 30 is_stmt 0               ; persistent_matmul.py:57:30
	v_ashrrev_i32_e32 v9, 31, v8
	s_delay_alu instid0(VALU_DEP_1) | instskip(NEXT) | instid1(VALU_DEP_1)
	v_lshlrev_b64_e32 v[8:9], 2, v[8:9]
	v_add_co_u32 v8, vcc_lo, s12, v8
	s_wait_alu depctr_va_vcc(0)
	s_delay_alu instid0(VALU_DEP_2)
	v_add_co_ci_u32_e64 v9, null, s13, v9, vcc_lo
	.loc	1 60 24 is_stmt 1               ; persistent_matmul.py:60:24
	global_load_b32 v6, v[8:9], off
.LBB0_13:
	.loc	1 0 24 is_stmt 0                ; persistent_matmul.py:0:24
	s_or_b32 exec_lo, exec_lo, s14
	.loc	1 47 41 is_stmt 1               ; persistent_matmul.py:47:41
	v_or_b32_e32 v192, 48, v183
	s_mov_b32 s19, s17
	v_mov_b32_e32 v9, 0
	s_delay_alu instid0(VALU_DEP_2) | instskip(NEXT) | instid1(VALU_DEP_1)
	.loc	1 47 28 is_stmt 0               ; persistent_matmul.py:47:28
	v_or_b32_e32 v8, s20, v192
	.loc	1 49 37 is_stmt 1               ; persistent_matmul.py:49:37
	v_cmp_gt_i32_e32 vcc_lo, s6, v8
	.loc	1 49 49 is_stmt 0               ; persistent_matmul.py:49:49
	s_wait_alu depctr_va_vcc(0)
	v_cndmask_b32_e32 v8, 0, v8, vcc_lo
	s_delay_alu instid0(VALU_DEP_1)
	.loc	1 57 49 is_stmt 1               ; persistent_matmul.py:57:49
	v_mul_lo_u32 v197, v8, s10
	v_mov_b32_e32 v8, 0
	.loc	1 60 24                         ; persistent_matmul.py:60:24
	s_and_saveexec_b32 s14, s67
	s_cbranch_execz .LBB0_15
; %bb.14:
	.loc	1 0 24 is_stmt 0                ; persistent_matmul.py:0:24
	s_delay_alu instid0(VALU_DEP_2) | instskip(NEXT) | instid1(VALU_DEP_1)
	.loc	1 57 61 is_stmt 1               ; persistent_matmul.py:57:61
	v_add_nc_u32_e32 v11, v197, v10
	.loc	1 57 30 is_stmt 0               ; persistent_matmul.py:57:30
	v_ashrrev_i32_e32 v12, 31, v11
	s_delay_alu instid0(VALU_DEP_1) | instskip(NEXT) | instid1(VALU_DEP_1)
	v_lshlrev_b64_e32 v[11:12], 2, v[11:12]
	v_add_co_u32 v11, vcc_lo, s12, v11
	s_wait_alu depctr_va_vcc(0)
	s_delay_alu instid0(VALU_DEP_2)
	v_add_co_ci_u32_e64 v12, null, s13, v12, vcc_lo
	.loc	1 60 24 is_stmt 1               ; persistent_matmul.py:60:24
	global_load_b32 v9, v[11:12], off
.LBB0_15:
	.loc	1 0 24 is_stmt 0                ; persistent_matmul.py:0:24
	s_or_b32 exec_lo, exec_lo, s14
	.loc	1 47 41 is_stmt 1               ; persistent_matmul.py:47:41
	v_or_b32_e32 v194, 56, v183
	s_clause 0x1
	s_load_b64 s[14:15], s[0:1], 0x8
	s_load_b32 s63, s[0:1], 0x30
	s_delay_alu instid0(VALU_DEP_1) | instskip(SKIP_3) | instid1(VALU_DEP_1)
	.loc	1 47 28 is_stmt 0               ; persistent_matmul.py:47:28
	v_or_b32_e32 v11, s20, v194
	s_mul_u64 s[20:21], s[18:19], s[16:17]
	s_ashr_i32 s16, s66, 31
	s_ashr_i32 s19, s68, 31
	.loc	1 49 37 is_stmt 1               ; persistent_matmul.py:49:37
	v_cmp_gt_i32_e32 vcc_lo, s6, v11
	.loc	1 49 49 is_stmt 0               ; persistent_matmul.py:49:49
	s_wait_alu depctr_va_vcc(0)
	v_cndmask_b32_e32 v11, 0, v11, vcc_lo
	s_delay_alu instid0(VALU_DEP_1)
	.loc	1 57 49 is_stmt 1               ; persistent_matmul.py:57:49
	v_mul_lo_u32 v199, v11, s10
	.loc	1 60 24                         ; persistent_matmul.py:60:24
	s_and_saveexec_b32 s20, s67
	s_cbranch_execz .LBB0_17
; %bb.16:
	.loc	1 0 24 is_stmt 0                ; persistent_matmul.py:0:24
	s_delay_alu instid0(VALU_DEP_1) | instskip(NEXT) | instid1(VALU_DEP_1)
	.loc	1 57 61 is_stmt 1               ; persistent_matmul.py:57:61
	v_add_nc_u32_e32 v10, v199, v10
	.loc	1 57 30 is_stmt 0               ; persistent_matmul.py:57:30
	v_ashrrev_i32_e32 v11, 31, v10
	s_delay_alu instid0(VALU_DEP_1) | instskip(NEXT) | instid1(VALU_DEP_1)
	v_lshlrev_b64_e32 v[10:11], 2, v[10:11]
	v_add_co_u32 v10, vcc_lo, s12, v10
	s_wait_alu depctr_va_vcc(0)
	s_delay_alu instid0(VALU_DEP_2)
	v_add_co_ci_u32_e64 v11, null, s13, v11, vcc_lo
	.loc	1 60 24 is_stmt 1               ; persistent_matmul.py:60:24
	global_load_b32 v8, v[10:11], off
.LBB0_17:
	.loc	1 0 24 is_stmt 0                ; persistent_matmul.py:0:24
	s_wait_alu depctr_sa_sdst(0)
	s_or_b32 exec_lo, exec_lo, s20
.Ltmp24:
	.loc	1 14 44 is_stmt 1               ; persistent_matmul.py:14:44 @[ persistent_matmul.py:44:88 ]
	s_mul_i32 s20, s21, s9
	s_xor_b32 s16, s19, s16
	s_wait_alu depctr_sa_sdst(0)
	s_sub_co_i32 s18, s18, s20
	s_add_co_i32 s19, s21, 1
	s_sub_co_i32 s20, s18, s9
	s_cmp_ge_u32 s18, s9
	v_mov_b32_e32 v11, 0
	s_cselect_b32 s19, s19, s21
	s_wait_alu depctr_sa_sdst(0)
	s_cselect_b32 s18, s20, s18
	s_add_co_i32 s20, s19, 1
	s_cmp_ge_u32 s18, s9
	s_wait_alu depctr_sa_sdst(0)
	s_cselect_b32 s9, s20, s19
	s_load_b32 s20, s[0:1], 0x2c
	s_xor_b32 s9, s9, s16
	s_wait_alu depctr_sa_sdst(0)
	s_sub_co_i32 s9, s9, s16
.Ltmp25:
	.loc	1 61 64                         ; persistent_matmul.py:61:64
	s_cmp_ge_i32 s22, s62
	.loc	1 48 28                         ; persistent_matmul.py:48:28
	s_wait_alu depctr_sa_sdst(0)
	v_lshl_or_b32 v10, s9, 6, v177
	.loc	1 61 64                         ; persistent_matmul.py:61:64
	s_cselect_b32 s0, -1, 0
	.loc	1 43 59                         ; persistent_matmul.py:43:59
	s_xor_b32 s16, s61, -1
	s_delay_alu instid0(SALU_CYCLE_1) | instskip(NEXT) | instid1(VALU_DEP_1)
	.loc	1 61 24                         ; persistent_matmul.py:61:24
	s_or_b32 s0, s0, s16
	.loc	1 50 37                         ; persistent_matmul.py:50:37
	v_cmp_gt_i32_e32 vcc_lo, s7, v10
	.loc	1 50 49 is_stmt 0               ; persistent_matmul.py:50:49
	s_wait_alu depctr_va_vcc(0)
	v_cndmask_b32_e32 v10, 0, v10, vcc_lo
	.loc	1 61 24 is_stmt 1               ; persistent_matmul.py:61:24
	s_and_b32 vcc_lo, exec_lo, s0
	.loc	1 58 79                         ; persistent_matmul.py:58:79
	s_wait_kmcnt 0x0
	s_delay_alu instid0(VALU_DEP_1)
	v_mul_lo_u32 v176, v10, s63
	v_mov_b32_e32 v10, 0
	s_wait_alu depctr_sa_sdst(0)
	s_cbranch_vccnz .LBB0_19
; %bb.18:
	.loc	1 0 79 is_stmt 0                ; persistent_matmul.py:0:79
	s_delay_alu instid0(VALU_DEP_2) | instskip(NEXT) | instid1(VALU_DEP_1)
	v_mad_co_u64_u32 v[11:12], null, s20, s22, v[176:177]
	v_ashrrev_i32_e32 v12, 31, v11
	s_delay_alu instid0(VALU_DEP_1) | instskip(NEXT) | instid1(VALU_DEP_1)
	v_lshlrev_b64_e32 v[11:12], 2, v[11:12]
	v_add_co_u32 v11, vcc_lo, s14, v11
	s_wait_alu depctr_va_vcc(0)
	s_delay_alu instid0(VALU_DEP_2)
	v_add_co_ci_u32_e64 v12, null, s15, v12, vcc_lo
	.loc	1 61 24 is_stmt 1               ; persistent_matmul.py:61:24
	global_load_b32 v11, v[11:12], off
.LBB0_19:
	.loc	1 61 64                         ; persistent_matmul.py:61:64
	s_cmp_ge_i32 s23, s62
	s_cselect_b32 s0, -1, 0
	s_delay_alu instid0(SALU_CYCLE_1) | instskip(NEXT) | instid1(SALU_CYCLE_1)
	.loc	1 61 24 is_stmt 0               ; persistent_matmul.py:61:24
	s_or_b32 s0, s0, s16
	s_and_b32 vcc_lo, exec_lo, s0
	s_wait_alu depctr_sa_sdst(0)
	s_cbranch_vccnz .LBB0_21
; %bb.20:
	.loc	1 58 60 is_stmt 1               ; persistent_matmul.py:58:60
	v_mad_co_u64_u32 v[12:13], null, s20, s23, v[176:177]
	s_delay_alu instid0(VALU_DEP_1) | instskip(NEXT) | instid1(VALU_DEP_1)
	.loc	1 58 30 is_stmt 0               ; persistent_matmul.py:58:30
	v_ashrrev_i32_e32 v13, 31, v12
	v_lshlrev_b64_e32 v[12:13], 2, v[12:13]
	s_delay_alu instid0(VALU_DEP_1) | instskip(SKIP_1) | instid1(VALU_DEP_2)
	v_add_co_u32 v12, vcc_lo, s14, v12
	s_wait_alu depctr_va_vcc(0)
	v_add_co_ci_u32_e64 v13, null, s15, v13, vcc_lo
	.loc	1 61 24 is_stmt 1               ; persistent_matmul.py:61:24
	global_load_b32 v10, v[12:13], off
.LBB0_21:
	.loc	1 61 64 is_stmt 0               ; persistent_matmul.py:61:64
	s_cmp_ge_i32 s24, s62
	v_dual_mov_b32 v12, 0 :: v_dual_mov_b32 v13, 0
	s_cselect_b32 s0, -1, 0
	s_delay_alu instid0(SALU_CYCLE_1) | instskip(NEXT) | instid1(SALU_CYCLE_1)
	.loc	1 61 24                         ; persistent_matmul.py:61:24
	s_or_b32 s0, s0, s16
	s_and_b32 vcc_lo, exec_lo, s0
	s_wait_alu depctr_sa_sdst(0)
	s_cbranch_vccnz .LBB0_23
; %bb.22:
	.loc	1 58 60 is_stmt 1               ; persistent_matmul.py:58:60
	v_mad_co_u64_u32 v[13:14], null, s20, s24, v[176:177]
	s_delay_alu instid0(VALU_DEP_1) | instskip(NEXT) | instid1(VALU_DEP_1)
	.loc	1 58 30 is_stmt 0               ; persistent_matmul.py:58:30
	v_ashrrev_i32_e32 v14, 31, v13
	v_lshlrev_b64_e32 v[13:14], 2, v[13:14]
	s_delay_alu instid0(VALU_DEP_1) | instskip(SKIP_1) | instid1(VALU_DEP_2)
	v_add_co_u32 v13, vcc_lo, s14, v13
	s_wait_alu depctr_va_vcc(0)
	v_add_co_ci_u32_e64 v14, null, s15, v14, vcc_lo
	.loc	1 61 24 is_stmt 1               ; persistent_matmul.py:61:24
	global_load_b32 v13, v[13:14], off
.LBB0_23:
	.loc	1 61 64 is_stmt 0               ; persistent_matmul.py:61:64
	s_cmp_ge_i32 s25, s62
	s_cselect_b32 s0, -1, 0
	s_delay_alu instid0(SALU_CYCLE_1) | instskip(NEXT) | instid1(SALU_CYCLE_1)
	.loc	1 61 24                         ; persistent_matmul.py:61:24
	s_or_b32 s0, s0, s16
	s_and_b32 vcc_lo, exec_lo, s0
	s_wait_alu depctr_sa_sdst(0)
	s_cbranch_vccnz .LBB0_25
; %bb.24:
	.loc	1 58 60 is_stmt 1               ; persistent_matmul.py:58:60
	v_mad_co_u64_u32 v[14:15], null, s20, s25, v[176:177]
	s_delay_alu instid0(VALU_DEP_1) | instskip(NEXT) | instid1(VALU_DEP_1)
	.loc	1 58 30 is_stmt 0               ; persistent_matmul.py:58:30
	v_ashrrev_i32_e32 v15, 31, v14
	v_lshlrev_b64_e32 v[14:15], 2, v[14:15]
	s_delay_alu instid0(VALU_DEP_1) | instskip(SKIP_1) | instid1(VALU_DEP_2)
	v_add_co_u32 v14, vcc_lo, s14, v14
	s_wait_alu depctr_va_vcc(0)
	v_add_co_ci_u32_e64 v15, null, s15, v15, vcc_lo
	.loc	1 61 24 is_stmt 1               ; persistent_matmul.py:61:24
	global_load_b32 v12, v[14:15], off
.LBB0_25:
	.loc	1 61 64 is_stmt 0               ; persistent_matmul.py:61:64
	s_cmp_ge_i32 s26, s62
	v_dual_mov_b32 v14, 0 :: v_dual_mov_b32 v15, 0
	s_cselect_b32 s0, -1, 0
	s_delay_alu instid0(SALU_CYCLE_1) | instskip(NEXT) | instid1(SALU_CYCLE_1)
	.loc	1 61 24                         ; persistent_matmul.py:61:24
	s_or_b32 s0, s0, s16
	s_and_b32 vcc_lo, exec_lo, s0
	s_wait_alu depctr_sa_sdst(0)
	s_cbranch_vccnz .LBB0_27
; %bb.26:
	.loc	1 58 60 is_stmt 1               ; persistent_matmul.py:58:60
	v_mad_co_u64_u32 v[15:16], null, s20, s26, v[176:177]
	s_delay_alu instid0(VALU_DEP_1) | instskip(NEXT) | instid1(VALU_DEP_1)
	.loc	1 58 30 is_stmt 0               ; persistent_matmul.py:58:30
	v_ashrrev_i32_e32 v16, 31, v15
	v_lshlrev_b64_e32 v[15:16], 2, v[15:16]
	s_delay_alu instid0(VALU_DEP_1) | instskip(SKIP_1) | instid1(VALU_DEP_2)
	v_add_co_u32 v15, vcc_lo, s14, v15
	s_wait_alu depctr_va_vcc(0)
	v_add_co_ci_u32_e64 v16, null, s15, v16, vcc_lo
	.loc	1 61 24 is_stmt 1               ; persistent_matmul.py:61:24
	global_load_b32 v15, v[15:16], off
.LBB0_27:
	.loc	1 61 64 is_stmt 0               ; persistent_matmul.py:61:64
	s_cmp_ge_i32 s27, s62
	s_cselect_b32 s0, -1, 0
	s_delay_alu instid0(SALU_CYCLE_1) | instskip(NEXT) | instid1(SALU_CYCLE_1)
	.loc	1 61 24                         ; persistent_matmul.py:61:24
	s_or_b32 s0, s0, s16
	s_and_b32 vcc_lo, exec_lo, s0
	s_wait_alu depctr_sa_sdst(0)
	s_cbranch_vccnz .LBB0_29
; %bb.28:
	.loc	1 58 60 is_stmt 1               ; persistent_matmul.py:58:60
	v_mad_co_u64_u32 v[16:17], null, s20, s27, v[176:177]
	s_delay_alu instid0(VALU_DEP_1) | instskip(NEXT) | instid1(VALU_DEP_1)
	.loc	1 58 30 is_stmt 0               ; persistent_matmul.py:58:30
	v_ashrrev_i32_e32 v17, 31, v16
	v_lshlrev_b64_e32 v[16:17], 2, v[16:17]
	s_delay_alu instid0(VALU_DEP_1) | instskip(SKIP_1) | instid1(VALU_DEP_2)
	v_add_co_u32 v16, vcc_lo, s14, v16
	s_wait_alu depctr_va_vcc(0)
	v_add_co_ci_u32_e64 v17, null, s15, v17, vcc_lo
	.loc	1 61 24 is_stmt 1               ; persistent_matmul.py:61:24
	global_load_b32 v14, v[16:17], off
.LBB0_29:
	.loc	1 61 64 is_stmt 0               ; persistent_matmul.py:61:64
	s_cmp_ge_i32 s28, s62
	v_dual_mov_b32 v16, 0 :: v_dual_mov_b32 v17, 0
	s_cselect_b32 s0, -1, 0
	s_delay_alu instid0(SALU_CYCLE_1) | instskip(NEXT) | instid1(SALU_CYCLE_1)
	.loc	1 61 24                         ; persistent_matmul.py:61:24
	s_or_b32 s0, s0, s16
	s_and_b32 vcc_lo, exec_lo, s0
	s_wait_alu depctr_sa_sdst(0)
	s_cbranch_vccnz .LBB0_31
; %bb.30:
	.loc	1 58 60 is_stmt 1               ; persistent_matmul.py:58:60
	v_mad_co_u64_u32 v[17:18], null, s20, s28, v[176:177]
	s_delay_alu instid0(VALU_DEP_1) | instskip(NEXT) | instid1(VALU_DEP_1)
	.loc	1 58 30 is_stmt 0               ; persistent_matmul.py:58:30
	v_ashrrev_i32_e32 v18, 31, v17
	v_lshlrev_b64_e32 v[17:18], 2, v[17:18]
	s_delay_alu instid0(VALU_DEP_1) | instskip(SKIP_1) | instid1(VALU_DEP_2)
	v_add_co_u32 v17, vcc_lo, s14, v17
	s_wait_alu depctr_va_vcc(0)
	v_add_co_ci_u32_e64 v18, null, s15, v18, vcc_lo
	.loc	1 61 24 is_stmt 1               ; persistent_matmul.py:61:24
	global_load_b32 v17, v[17:18], off
.LBB0_31:
	.loc	1 61 64 is_stmt 0               ; persistent_matmul.py:61:64
	s_cmp_ge_i32 s29, s62
	s_cselect_b32 s0, -1, 0
	s_delay_alu instid0(SALU_CYCLE_1) | instskip(NEXT) | instid1(SALU_CYCLE_1)
	.loc	1 61 24                         ; persistent_matmul.py:61:24
	s_or_b32 s0, s0, s16
	s_and_b32 vcc_lo, exec_lo, s0
	s_wait_alu depctr_sa_sdst(0)
	s_cbranch_vccnz .LBB0_33
; %bb.32:
	.loc	1 58 60 is_stmt 1               ; persistent_matmul.py:58:60
	v_mad_co_u64_u32 v[18:19], null, s20, s29, v[176:177]
	s_delay_alu instid0(VALU_DEP_1) | instskip(NEXT) | instid1(VALU_DEP_1)
	.loc	1 58 30 is_stmt 0               ; persistent_matmul.py:58:30
	v_ashrrev_i32_e32 v19, 31, v18
	v_lshlrev_b64_e32 v[18:19], 2, v[18:19]
	s_delay_alu instid0(VALU_DEP_1) | instskip(SKIP_1) | instid1(VALU_DEP_2)
	v_add_co_u32 v18, vcc_lo, s14, v18
	s_wait_alu depctr_va_vcc(0)
	v_add_co_ci_u32_e64 v19, null, s15, v19, vcc_lo
	.loc	1 61 24 is_stmt 1               ; persistent_matmul.py:61:24
	global_load_b32 v16, v[18:19], off
.LBB0_33:
	.loc	1 60 24                         ; persistent_matmul.py:60:24
	v_lshlrev_b32_e32 v18, 2, v1
	v_and_b32_e32 v198, 0x70, v1
	v_lshlrev_b32_e32 v180, 4, v1
	v_lshlrev_b32_e32 v181, 8, v0
	v_and_b32_e32 v179, 3, v0
	v_and_b32_e32 v18, 0x1fc, v18
	v_lshlrev_b32_e32 v178, 2, v0
	.loc	1 43 59                         ; persistent_matmul.py:43:59
	s_add_co_i32 s21, s64, -1
	s_and_b32 s18, s58, 2
	s_mov_b32 s9, s17
	.loc	1 60 24                         ; persistent_matmul.py:60:24
	v_add_nc_u32_e32 v200, 0, v18
	.loc	1 43 59                         ; persistent_matmul.py:43:59
	s_add_co_i32 s17, s65, -1
	.loc	1 60 24                         ; persistent_matmul.py:60:24
	s_mov_b32 s19, 0
	.loc	1 43 59                         ; persistent_matmul.py:43:59
	s_wait_alu depctr_sa_sdst(0)
	s_cmp_lt_i32 s21, 1
	.loc	1 60 24                         ; persistent_matmul.py:60:24
	s_wait_loadcnt 0x0
	ds_store_2addr_stride64_b32 v200, v3, v2 offset0:64 offset1:66
	ds_store_2addr_stride64_b32 v200, v5, v4 offset0:68 offset1:70
	;; [unrolled: 1-line block ×4, first 2 shown]
	.loc	1 61 24                         ; persistent_matmul.py:61:24
	ds_store_2addr_stride64_b32 v200, v11, v10 offset0:80 offset1:82
	ds_store_2addr_stride64_b32 v200, v13, v12 offset0:84 offset1:86
	;; [unrolled: 1-line block ×4, first 2 shown]
	s_cbranch_scc1 .LBB0_137
; %bb.34:                               ; %.lr.ph
	.loc	1 0 24 is_stmt 0                ; persistent_matmul.py:0:24
	v_and_b32_e32 v0, 0x800, v181
	s_lshl_b32 s0, s58, 11
	v_dual_mov_b32 v24, 0 :: v_dual_lshlrev_b32 v3, 5, v179
	v_and_b32_e32 v6, 0x70, v178
	s_delay_alu instid0(VALU_DEP_3)
	v_and_or_b32 v201, 0x770, v180, v0
	v_lshlrev_b32_e32 v0, 12, v179
	s_and_b32 s0, s0, 0x800
	s_lshl_b32 s1, s18, 6
	v_lshlrev_b32_e32 v1, 4, v198
	s_or_b32 s0, s1, s0
	v_xor_b32_e32 v4, 32, v201
	v_xor_b32_e32 v5, 64, v201
	;; [unrolled: 1-line block ×4, first 2 shown]
	v_add3_u32 v6, s0, 0, v0
	v_mov_b32_e32 v0, 0
	v_lshlrev_b32_e32 v2, 4, v182
	v_add_nc_u32_e32 v202, 0, v1
	v_add_nc_u32_e32 v204, 0, v4
	v_dual_mov_b32 v8, 0 :: v_dual_add_nc_u32 v205, 0, v5
	v_dual_mov_b32 v29, v0 :: v_dual_add_nc_u32 v206, 0, v7
	;; [unrolled: 1-line block ×3, first 2 shown]
	v_mov_b32_e32 v16, 0
	v_dual_mov_b32 v20, 0 :: v_dual_mov_b32 v21, v0
	v_dual_mov_b32 v12, 0 :: v_dual_mov_b32 v13, v0
	v_dual_mov_b32 v4, 0 :: v_dual_mov_b32 v5, v0
	v_mov_b32_e32 v1, v0
	v_add_nc_u32_e32 v203, 0, v2
	v_mov_b32_e32 v25, v0
	v_mov_b32_e32 v17, v0
	v_dual_mov_b32 v9, v0 :: v_dual_mov_b32 v2, v0
	v_dual_mov_b32 v3, v0 :: v_dual_mov_b32 v26, v0
	;; [unrolled: 1-line block ×8, first 2 shown]
	v_mov_b32_e32 v7, v0
	s_mov_b32 s64, ttmp9
	.loc	1 38 28 is_stmt 1               ; persistent_matmul.py:38:28
	s_add_co_i32 s65, ttmp9, 0xffffff98
	s_mov_b32 s1, 0
	s_mov_b32 s66, 0
	s_branch .LBB0_37
.LBB0_35:                               ; %Flow194
                                        ;   in Loop: Header=BB0_37 Depth=1
	.loc	1 0 28 is_stmt 0                ; persistent_matmul.py:0:28
	s_wait_alu depctr_sa_sdst(0)
	s_or_b32 exec_lo, exec_lo, s0
.LBB0_36:                               ;   in Loop: Header=BB0_37 Depth=1
	.loc	1 60 24 is_stmt 1               ; persistent_matmul.py:60:24
	s_wait_storecnt 0x0
	s_wait_loadcnt_dscnt 0x0
	s_barrier_signal -1
	.loc	1 43 59                         ; persistent_matmul.py:43:59
	v_cndmask_b32_e64 v0, v0, 0, s67
	v_cndmask_b32_e64 v24, v24, 0, s67
	;; [unrolled: 1-line block ×32, first 2 shown]
	s_add_co_i32 s21, s21, -1
	.loc	1 60 24                         ; persistent_matmul.py:60:24
	s_barrier_wait -1
	.loc	1 43 59                         ; persistent_matmul.py:43:59
	s_wait_alu depctr_sa_sdst(0)
	s_cmp_lg_u32 s21, 0
	.loc	1 60 24                         ; persistent_matmul.py:60:24
	global_inv scope:SCOPE_SE
	ds_store_2addr_stride64_b32 v200, v209, v208 offset0:64 offset1:66
	ds_store_2addr_stride64_b32 v200, v211, v210 offset0:68 offset1:70
	;; [unrolled: 1-line block ×4, first 2 shown]
	.loc	1 61 24                         ; persistent_matmul.py:61:24
	ds_store_2addr_stride64_b32 v200, v217, v216 offset0:80 offset1:82
	ds_store_2addr_stride64_b32 v200, v219, v218 offset0:84 offset1:86
	;; [unrolled: 1-line block ×4, first 2 shown]
	.loc	1 43 59                         ; persistent_matmul.py:43:59
	s_cbranch_scc0 .LBB0_136
.LBB0_37:                               ; =>This Inner Loop Header: Depth=1
	.loc	1 43 59                         ; persistent_matmul.py:43:59
	s_add_co_i32 s0, s19, 1
	s_cmp_eq_u32 s19, s17
	s_cselect_b32 s67, -1, 0
	s_wait_alu depctr_sa_sdst(0)
	s_and_b32 s19, s67, exec_lo
	s_cselect_b32 s19, 0, s0
	s_delay_alu instid0(SALU_CYCLE_1)
	s_cmp_eq_u32 s19, 0
	s_cselect_b32 s68, -1, 0
	s_cmp_lg_u32 s19, 0
	s_cbranch_scc1 .LBB0_39
; %bb.38:                               ;   in Loop: Header=BB0_37 Depth=1
	s_addk_co_i32 s64, 0x68
	s_delay_alu instid0(SALU_CYCLE_1)
.Ltmp26:
	.loc	1 10 26                         ; persistent_matmul.py:10:26 @[ persistent_matmul.py:44:88 ]
	s_abs_i32 s0, s64
	s_ashr_i32 s69, s64, 31
	s_wait_alu depctr_sa_sdst(0)
	s_mul_u64 s[70:71], s[0:1], s[8:9]
	s_xor_b32 s72, s69, s60
	s_wait_alu depctr_sa_sdst(0)
	s_mul_i32 s70, s71, s59
	s_add_co_i32 s73, s71, 1
	s_wait_alu depctr_sa_sdst(0)
	s_sub_co_i32 s70, s0, s70
	s_wait_alu depctr_sa_sdst(0)
	s_sub_co_i32 s74, s70, s59
	s_cmp_ge_u32 s70, s59
	s_cselect_b32 s71, s73, s71
	s_wait_alu depctr_sa_sdst(0)
	s_cselect_b32 s70, s74, s70
	s_add_co_i32 s73, s71, 1
	s_wait_alu depctr_sa_sdst(0)
	s_cmp_ge_u32 s70, s59
	s_cselect_b32 s70, s73, s71
	s_wait_alu depctr_sa_sdst(0)
	s_xor_b32 s70, s70, s72
	s_wait_alu depctr_sa_sdst(0)
	s_sub_co_i32 s70, s70, s72
	.loc	1 11 29                         ; persistent_matmul.py:11:29 @[ persistent_matmul.py:44:88 ]
	s_wait_alu depctr_sa_sdst(0)
	s_lshl_b32 s71, s70, 3
	.loc	1 14 23                         ; persistent_matmul.py:14:23 @[ persistent_matmul.py:44:88 ]
	s_mul_i32 s70, s70, s38
	.loc	1 12 35                         ; persistent_matmul.py:12:35 @[ persistent_matmul.py:44:88 ]
	s_wait_alu depctr_sa_sdst(0)
	s_sub_co_i32 s72, s36, s71
	.loc	1 12 48 is_stmt 0               ; persistent_matmul.py:12:48 @[ persistent_matmul.py:44:88 ]
	s_wait_alu depctr_sa_sdst(0)
	s_min_i32 s72, s72, 8
	.loc	1 13 37 is_stmt 1               ; persistent_matmul.py:13:37 @[ persistent_matmul.py:44:88 ]
	s_wait_alu depctr_sa_sdst(0)
	s_abs_i32 s73, s72
	s_wait_alu depctr_sa_sdst(0)
	s_cvt_f32_u32 s74, s73
	s_sub_co_i32 s75, 0, s73
	s_wait_alu depctr_sa_sdst(0)
	s_delay_alu instid0(SALU_CYCLE_1) | instskip(NEXT) | instid1(TRANS32_DEP_1)
	v_rcp_iflag_f32_e32 v32, s74
	v_readfirstlane_b32 s74, v32
	s_mul_f32 s74, s74, 0x4f7ffffe
	s_wait_alu depctr_sa_sdst(0)
	s_delay_alu instid0(SALU_CYCLE_2) | instskip(SKIP_1) | instid1(SALU_CYCLE_2)
	s_cvt_u32_f32 s74, s74
	s_wait_alu depctr_sa_sdst(0)
	s_mul_i32 s75, s75, s74
	s_wait_alu depctr_sa_sdst(0)
	s_mul_hi_u32 s75, s74, s75
	s_wait_alu depctr_sa_sdst(0)
	s_add_co_i32 s74, s74, s75
	s_wait_alu depctr_sa_sdst(0)
	s_mul_hi_u32 s75, s0, s74
	s_wait_alu depctr_sa_sdst(0)
	s_mul_i32 s75, s75, s73
	s_wait_alu depctr_sa_sdst(0)
	s_sub_co_i32 s0, s0, s75
	s_wait_alu depctr_sa_sdst(0)
	s_sub_co_i32 s75, s0, s73
	s_cmp_ge_u32 s0, s73
	s_wait_alu depctr_sa_sdst(0)
	s_cselect_b32 s0, s75, s0
	s_wait_alu depctr_sa_sdst(0)
	s_sub_co_i32 s75, s0, s73
	s_cmp_ge_u32 s0, s73
	s_wait_alu depctr_sa_sdst(0)
	s_cselect_b32 s0, s75, s0
	.loc	1 14 23                         ; persistent_matmul.py:14:23 @[ persistent_matmul.py:44:88 ]
	s_sub_co_i32 s70, s64, s70
	.loc	1 13 37                         ; persistent_matmul.py:13:37 @[ persistent_matmul.py:44:88 ]
	s_wait_alu depctr_sa_sdst(0)
	s_xor_b32 s0, s0, s69
	.loc	1 14 44                         ; persistent_matmul.py:14:44 @[ persistent_matmul.py:44:88 ]
	s_xor_b32 s72, s70, s72
	s_abs_i32 s70, s70
	.loc	1 13 37                         ; persistent_matmul.py:13:37 @[ persistent_matmul.py:44:88 ]
	s_wait_alu depctr_sa_sdst(0)
	s_sub_co_i32 s0, s0, s69
	.loc	1 14 44                         ; persistent_matmul.py:14:44 @[ persistent_matmul.py:44:88 ]
	s_mul_hi_u32 s69, s70, s74
	.loc	1 13 27                         ; persistent_matmul.py:13:27 @[ persistent_matmul.py:44:88 ]
	s_wait_alu depctr_sa_sdst(0)
	s_add_co_i32 s71, s71, s0
	.loc	1 14 44                         ; persistent_matmul.py:14:44 @[ persistent_matmul.py:44:88 ]
	s_mul_i32 s74, s69, s73
	s_ashr_i32 s72, s72, 31
	s_wait_alu depctr_sa_sdst(0)
	s_sub_co_i32 s0, s70, s74
	s_add_co_i32 s70, s69, 1
	s_wait_alu depctr_sa_sdst(0)
	s_sub_co_i32 s74, s0, s73
	s_cmp_ge_u32 s0, s73
	s_cselect_b32 s69, s70, s69
	s_wait_alu depctr_sa_sdst(0)
	s_cselect_b32 s0, s74, s0
	s_add_co_i32 s70, s69, 1
	s_wait_alu depctr_sa_sdst(0)
	s_cmp_ge_u32 s0, s73
	s_cselect_b32 s0, s70, s69
.Ltmp27:
	.loc	1 45 26                         ; persistent_matmul.py:45:26
	s_lshl_b32 s69, s71, 6
.Ltmp28:
	.loc	1 14 44                         ; persistent_matmul.py:14:44 @[ persistent_matmul.py:44:88 ]
	s_wait_alu depctr_sa_sdst(0)
	s_xor_b32 s0, s0, s72
.Ltmp29:
	.loc	1 47 28                         ; persistent_matmul.py:47:28
	v_or_b32_e32 v32, s69, v183
	v_or_b32_e32 v33, s69, v184
	;; [unrolled: 1-line block ×5, first 2 shown]
	.loc	1 49 37                         ; persistent_matmul.py:49:37
	v_cmp_gt_i32_e32 vcc_lo, s6, v32
	.loc	1 47 28                         ; persistent_matmul.py:47:28
	v_or_b32_e32 v37, s69, v189
	v_or_b32_e32 v38, s69, v192
	;; [unrolled: 1-line block ×3, first 2 shown]
.Ltmp30:
	.loc	1 14 44                         ; persistent_matmul.py:14:44 @[ persistent_matmul.py:44:88 ]
	s_wait_alu depctr_sa_sdst(0)
	s_sub_co_i32 s0, s0, s72
.Ltmp31:
	.loc	1 49 49                         ; persistent_matmul.py:49:49
	s_wait_alu depctr_va_vcc(0)
	v_cndmask_b32_e32 v32, 0, v32, vcc_lo
	.loc	1 49 37 is_stmt 0               ; persistent_matmul.py:49:37
	v_cmp_gt_i32_e32 vcc_lo, s6, v33
	.loc	1 48 28 is_stmt 1               ; persistent_matmul.py:48:28
	s_wait_alu depctr_sa_sdst(0)
	v_lshl_or_b32 v40, s0, 6, v177
	.loc	1 49 49                         ; persistent_matmul.py:49:49
	s_wait_alu depctr_va_vcc(0)
	v_cndmask_b32_e32 v33, 0, v33, vcc_lo
	.loc	1 49 37 is_stmt 0               ; persistent_matmul.py:49:37
	v_cmp_gt_i32_e32 vcc_lo, s6, v34
	.loc	1 57 49 is_stmt 1               ; persistent_matmul.py:57:49
	v_mul_lo_u32 v187, v32, s10
	s_delay_alu instid0(VALU_DEP_3)
	v_mul_lo_u32 v190, v33, s10
	.loc	1 49 49                         ; persistent_matmul.py:49:49
	s_wait_alu depctr_va_vcc(0)
	v_cndmask_b32_e32 v34, 0, v34, vcc_lo
	.loc	1 49 37 is_stmt 0               ; persistent_matmul.py:49:37
	v_cmp_gt_i32_e32 vcc_lo, s6, v35
	.loc	1 49 49                         ; persistent_matmul.py:49:49
	s_wait_alu depctr_va_vcc(0)
	v_cndmask_b32_e32 v35, 0, v35, vcc_lo
	.loc	1 49 37                         ; persistent_matmul.py:49:37
	v_cmp_gt_i32_e32 vcc_lo, s6, v36
	.loc	1 57 49 is_stmt 1               ; persistent_matmul.py:57:49
	v_mul_lo_u32 v191, v34, s10
	s_delay_alu instid0(VALU_DEP_3)
	v_mul_lo_u32 v193, v35, s10
	.loc	1 49 49                         ; persistent_matmul.py:49:49
	s_wait_alu depctr_va_vcc(0)
	v_cndmask_b32_e32 v36, 0, v36, vcc_lo
	.loc	1 49 37 is_stmt 0               ; persistent_matmul.py:49:37
	v_cmp_gt_i32_e32 vcc_lo, s6, v37
	.loc	1 49 49                         ; persistent_matmul.py:49:49
	s_wait_alu depctr_va_vcc(0)
	v_cndmask_b32_e32 v37, 0, v37, vcc_lo
	.loc	1 49 37                         ; persistent_matmul.py:49:37
	v_cmp_gt_i32_e32 vcc_lo, s6, v38
	.loc	1 57 49 is_stmt 1               ; persistent_matmul.py:57:49
	v_mul_lo_u32 v195, v36, s10
	s_delay_alu instid0(VALU_DEP_3)
	v_mul_lo_u32 v196, v37, s10
	.loc	1 49 49                         ; persistent_matmul.py:49:49
	s_wait_alu depctr_va_vcc(0)
	v_cndmask_b32_e32 v38, 0, v38, vcc_lo
	.loc	1 49 37 is_stmt 0               ; persistent_matmul.py:49:37
	v_cmp_gt_i32_e32 vcc_lo, s6, v39
	.loc	1 49 49                         ; persistent_matmul.py:49:49
	s_wait_alu depctr_va_vcc(0)
	v_cndmask_b32_e32 v39, 0, v39, vcc_lo
	.loc	1 50 37 is_stmt 1               ; persistent_matmul.py:50:37
	v_cmp_gt_i32_e32 vcc_lo, s7, v40
	.loc	1 57 49                         ; persistent_matmul.py:57:49
	v_mul_lo_u32 v197, v38, s10
	s_delay_alu instid0(VALU_DEP_3) | instskip(SKIP_2) | instid1(VALU_DEP_1)
	v_mul_lo_u32 v199, v39, s10
	.loc	1 50 49                         ; persistent_matmul.py:50:49
	s_wait_alu depctr_va_vcc(0)
	v_cndmask_b32_e32 v40, 0, v40, vcc_lo
	.loc	1 58 79                         ; persistent_matmul.py:58:79
	v_mul_lo_u32 v176, v40, s63
.LBB0_39:                               ;   in Loop: Header=BB0_37 Depth=1
	.loc	1 43 59                         ; persistent_matmul.py:43:59
	s_add_co_i32 s0, s66, 1
	s_wait_alu depctr_sa_sdst(0)
	s_and_b32 s66, s68, exec_lo
	s_cselect_b32 s66, 0, s0
	v_dual_mov_b32 v208, 0 :: v_dual_mov_b32 v209, 0
	.loc	1 56 26                         ; persistent_matmul.py:56:26
	s_wait_alu depctr_sa_sdst(0)
	s_lshl_b32 s68, s66, 4
	.loc	1 56 41 is_stmt 0               ; persistent_matmul.py:56:41
	s_wait_alu depctr_sa_sdst(0)
	v_or_b32_e32 v32, s68, v182
	.loc	1 60 68 is_stmt 1               ; persistent_matmul.py:60:68
	s_sub_co_i32 s69, s62, s68
	.loc	1 60 64 is_stmt 0               ; persistent_matmul.py:60:64
	s_wait_alu depctr_sa_sdst(0)
	v_cmp_gt_i32_e32 vcc_lo, s69, v182
	s_delay_alu instid0(VALU_DEP_2)
	.loc	1 57 79 is_stmt 1               ; persistent_matmul.py:57:79
	v_mul_lo_u32 v32, v32, s11
	.loc	1 60 24                         ; persistent_matmul.py:60:24
	s_and_saveexec_b32 s70, vcc_lo
	s_cbranch_execz .LBB0_41
; %bb.40:                               ;   in Loop: Header=BB0_37 Depth=1
	.loc	1 0 24 is_stmt 0                ; persistent_matmul.py:0:24
	s_delay_alu instid0(VALU_DEP_1) | instskip(NEXT) | instid1(VALU_DEP_1)
	v_add_nc_u32_e32 v33, v187, v32
	v_ashrrev_i32_e32 v34, 31, v33
	s_delay_alu instid0(VALU_DEP_1) | instskip(NEXT) | instid1(VALU_DEP_1)
	v_lshlrev_b64_e32 v[33:34], 2, v[33:34]
	v_add_co_u32 v33, s0, s12, v33
	s_wait_alu depctr_va_sdst(0)
	s_delay_alu instid0(VALU_DEP_2)
	v_add_co_ci_u32_e64 v34, null, s13, v34, s0
	.loc	1 60 24                         ; persistent_matmul.py:60:24
	global_load_b32 v209, v[33:34], off
.LBB0_41:                               ;   in Loop: Header=BB0_37 Depth=1
	.loc	1 0 24                          ; persistent_matmul.py:0:24
	s_wait_alu depctr_sa_sdst(0)
	s_or_b32 exec_lo, exec_lo, s70
	.loc	1 60 24                         ; persistent_matmul.py:60:24
	s_and_saveexec_b32 s70, vcc_lo
	s_cbranch_execz .LBB0_43
; %bb.42:                               ;   in Loop: Header=BB0_37 Depth=1
	.loc	1 0 24                          ; persistent_matmul.py:0:24
	s_delay_alu instid0(VALU_DEP_1) | instskip(NEXT) | instid1(VALU_DEP_1)
	.loc	1 57 61 is_stmt 1               ; persistent_matmul.py:57:61
	v_add_nc_u32_e32 v33, v190, v32
	.loc	1 57 30 is_stmt 0               ; persistent_matmul.py:57:30
	v_ashrrev_i32_e32 v34, 31, v33
	s_delay_alu instid0(VALU_DEP_1) | instskip(NEXT) | instid1(VALU_DEP_1)
	v_lshlrev_b64_e32 v[33:34], 2, v[33:34]
	v_add_co_u32 v33, s0, s12, v33
	s_wait_alu depctr_va_sdst(0)
	s_delay_alu instid0(VALU_DEP_2)
	v_add_co_ci_u32_e64 v34, null, s13, v34, s0
	.loc	1 60 24 is_stmt 1               ; persistent_matmul.py:60:24
	global_load_b32 v208, v[33:34], off
.LBB0_43:                               ;   in Loop: Header=BB0_37 Depth=1
	.loc	1 0 24 is_stmt 0                ; persistent_matmul.py:0:24
	s_wait_alu depctr_sa_sdst(0)
	s_or_b32 exec_lo, exec_lo, s70
	v_dual_mov_b32 v210, 0 :: v_dual_mov_b32 v211, 0
	.loc	1 60 24                         ; persistent_matmul.py:60:24
	s_and_saveexec_b32 s70, vcc_lo
	s_cbranch_execz .LBB0_45
; %bb.44:                               ;   in Loop: Header=BB0_37 Depth=1
	.loc	1 57 61 is_stmt 1               ; persistent_matmul.py:57:61
	v_add_nc_u32_e32 v33, v191, v32
	s_delay_alu instid0(VALU_DEP_1) | instskip(NEXT) | instid1(VALU_DEP_1)
	.loc	1 57 30 is_stmt 0               ; persistent_matmul.py:57:30
	v_ashrrev_i32_e32 v34, 31, v33
	v_lshlrev_b64_e32 v[33:34], 2, v[33:34]
	s_delay_alu instid0(VALU_DEP_1) | instskip(SKIP_1) | instid1(VALU_DEP_2)
	v_add_co_u32 v33, s0, s12, v33
	s_wait_alu depctr_va_sdst(0)
	v_add_co_ci_u32_e64 v34, null, s13, v34, s0
	.loc	1 60 24 is_stmt 1               ; persistent_matmul.py:60:24
	global_load_b32 v211, v[33:34], off
.LBB0_45:                               ;   in Loop: Header=BB0_37 Depth=1
	.loc	1 0 24 is_stmt 0                ; persistent_matmul.py:0:24
	s_wait_alu depctr_sa_sdst(0)
	s_or_b32 exec_lo, exec_lo, s70
	.loc	1 60 24                         ; persistent_matmul.py:60:24
	s_and_saveexec_b32 s70, vcc_lo
	s_cbranch_execz .LBB0_47
; %bb.46:                               ;   in Loop: Header=BB0_37 Depth=1
	.loc	1 57 61 is_stmt 1               ; persistent_matmul.py:57:61
	v_add_nc_u32_e32 v33, v193, v32
	s_delay_alu instid0(VALU_DEP_1) | instskip(NEXT) | instid1(VALU_DEP_1)
	.loc	1 57 30 is_stmt 0               ; persistent_matmul.py:57:30
	v_ashrrev_i32_e32 v34, 31, v33
	v_lshlrev_b64_e32 v[33:34], 2, v[33:34]
	s_delay_alu instid0(VALU_DEP_1) | instskip(SKIP_1) | instid1(VALU_DEP_2)
	v_add_co_u32 v33, s0, s12, v33
	s_wait_alu depctr_va_sdst(0)
	v_add_co_ci_u32_e64 v34, null, s13, v34, s0
	.loc	1 60 24 is_stmt 1               ; persistent_matmul.py:60:24
	global_load_b32 v210, v[33:34], off
.LBB0_47:                               ;   in Loop: Header=BB0_37 Depth=1
	.loc	1 0 24 is_stmt 0                ; persistent_matmul.py:0:24
	s_wait_alu depctr_sa_sdst(0)
	s_or_b32 exec_lo, exec_lo, s70
	v_dual_mov_b32 v212, 0 :: v_dual_mov_b32 v213, 0
	.loc	1 60 24                         ; persistent_matmul.py:60:24
	s_and_saveexec_b32 s70, vcc_lo
	s_cbranch_execz .LBB0_49
; %bb.48:                               ;   in Loop: Header=BB0_37 Depth=1
	.loc	1 57 61 is_stmt 1               ; persistent_matmul.py:57:61
	v_add_nc_u32_e32 v33, v195, v32
	s_delay_alu instid0(VALU_DEP_1) | instskip(NEXT) | instid1(VALU_DEP_1)
	.loc	1 57 30 is_stmt 0               ; persistent_matmul.py:57:30
	v_ashrrev_i32_e32 v34, 31, v33
	v_lshlrev_b64_e32 v[33:34], 2, v[33:34]
	s_delay_alu instid0(VALU_DEP_1) | instskip(SKIP_1) | instid1(VALU_DEP_2)
	v_add_co_u32 v33, s0, s12, v33
	s_wait_alu depctr_va_sdst(0)
	v_add_co_ci_u32_e64 v34, null, s13, v34, s0
	.loc	1 60 24 is_stmt 1               ; persistent_matmul.py:60:24
	global_load_b32 v213, v[33:34], off
.LBB0_49:                               ;   in Loop: Header=BB0_37 Depth=1
	.loc	1 0 24 is_stmt 0                ; persistent_matmul.py:0:24
	s_wait_alu depctr_sa_sdst(0)
	s_or_b32 exec_lo, exec_lo, s70
	.loc	1 60 24                         ; persistent_matmul.py:60:24
	s_and_saveexec_b32 s70, vcc_lo
	s_cbranch_execz .LBB0_51
; %bb.50:                               ;   in Loop: Header=BB0_37 Depth=1
	.loc	1 57 61 is_stmt 1               ; persistent_matmul.py:57:61
	v_add_nc_u32_e32 v33, v196, v32
	s_delay_alu instid0(VALU_DEP_1) | instskip(NEXT) | instid1(VALU_DEP_1)
	.loc	1 57 30 is_stmt 0               ; persistent_matmul.py:57:30
	v_ashrrev_i32_e32 v34, 31, v33
	v_lshlrev_b64_e32 v[33:34], 2, v[33:34]
	s_delay_alu instid0(VALU_DEP_1) | instskip(SKIP_1) | instid1(VALU_DEP_2)
	v_add_co_u32 v33, s0, s12, v33
	s_wait_alu depctr_va_sdst(0)
	v_add_co_ci_u32_e64 v34, null, s13, v34, s0
	.loc	1 60 24 is_stmt 1               ; persistent_matmul.py:60:24
	global_load_b32 v212, v[33:34], off
.LBB0_51:                               ;   in Loop: Header=BB0_37 Depth=1
	.loc	1 0 24 is_stmt 0                ; persistent_matmul.py:0:24
	s_wait_alu depctr_sa_sdst(0)
	s_or_b32 exec_lo, exec_lo, s70
	v_dual_mov_b32 v214, 0 :: v_dual_mov_b32 v215, 0
	.loc	1 60 24                         ; persistent_matmul.py:60:24
	s_and_saveexec_b32 s70, vcc_lo
	s_cbranch_execz .LBB0_53
; %bb.52:                               ;   in Loop: Header=BB0_37 Depth=1
	.loc	1 57 61 is_stmt 1               ; persistent_matmul.py:57:61
	v_add_nc_u32_e32 v33, v197, v32
	s_delay_alu instid0(VALU_DEP_1) | instskip(NEXT) | instid1(VALU_DEP_1)
	.loc	1 57 30 is_stmt 0               ; persistent_matmul.py:57:30
	v_ashrrev_i32_e32 v34, 31, v33
	v_lshlrev_b64_e32 v[33:34], 2, v[33:34]
	s_delay_alu instid0(VALU_DEP_1) | instskip(SKIP_1) | instid1(VALU_DEP_2)
	v_add_co_u32 v33, s0, s12, v33
	s_wait_alu depctr_va_sdst(0)
	v_add_co_ci_u32_e64 v34, null, s13, v34, s0
	.loc	1 60 24 is_stmt 1               ; persistent_matmul.py:60:24
	global_load_b32 v215, v[33:34], off
.LBB0_53:                               ;   in Loop: Header=BB0_37 Depth=1
	.loc	1 0 24 is_stmt 0                ; persistent_matmul.py:0:24
	s_wait_alu depctr_sa_sdst(0)
	s_or_b32 exec_lo, exec_lo, s70
	.loc	1 60 24                         ; persistent_matmul.py:60:24
	s_and_saveexec_b32 s0, vcc_lo
	s_cbranch_execz .LBB0_55
; %bb.54:                               ;   in Loop: Header=BB0_37 Depth=1
	.loc	1 57 61 is_stmt 1               ; persistent_matmul.py:57:61
	v_add_nc_u32_e32 v32, v199, v32
	s_delay_alu instid0(VALU_DEP_1) | instskip(NEXT) | instid1(VALU_DEP_1)
	.loc	1 57 30 is_stmt 0               ; persistent_matmul.py:57:30
	v_ashrrev_i32_e32 v33, 31, v32
	v_lshlrev_b64_e32 v[32:33], 2, v[32:33]
	s_delay_alu instid0(VALU_DEP_1) | instskip(SKIP_1) | instid1(VALU_DEP_2)
	v_add_co_u32 v32, vcc_lo, s12, v32
	s_wait_alu depctr_va_vcc(0)
	v_add_co_ci_u32_e64 v33, null, s13, v33, vcc_lo
	.loc	1 60 24 is_stmt 1               ; persistent_matmul.py:60:24
	global_load_b32 v214, v[32:33], off
.LBB0_55:                               ;   in Loop: Header=BB0_37 Depth=1
	.loc	1 0 24 is_stmt 0                ; persistent_matmul.py:0:24
	s_wait_alu depctr_sa_sdst(0)
	s_or_b32 exec_lo, exec_lo, s0
	.loc	1 60 24                         ; persistent_matmul.py:60:24
	s_wait_loadcnt_dscnt 0x0
	s_barrier_signal -1
	v_dual_mov_b32 v216, 0 :: v_dual_mov_b32 v217, 0
	.loc	1 61 64 is_stmt 1               ; persistent_matmul.py:61:64
	s_cmp_ge_i32 s22, s69
	.loc	1 60 24                         ; persistent_matmul.py:60:24
	s_barrier_wait -1
	global_inv scope:SCOPE_SE
	ds_load_b128 v[172:175], v202 offset:16384
	ds_load_b128 v[124:127], v202 offset:16400
	;; [unrolled: 1-line block ×32, first 2 shown]
	.loc	1 61 24                         ; persistent_matmul.py:61:24
	s_cbranch_scc0 .LBB0_129
; %bb.56:                               ;   in Loop: Header=BB0_37 Depth=1
	.loc	1 61 64 is_stmt 0               ; persistent_matmul.py:61:64
	s_cmp_ge_i32 s23, s69
	.loc	1 61 24                         ; persistent_matmul.py:61:24
	s_cbranch_scc0 .LBB0_130
.LBB0_57:                               ;   in Loop: Header=BB0_37 Depth=1
	.loc	1 0 24                          ; persistent_matmul.py:0:24
	v_dual_mov_b32 v218, 0 :: v_dual_mov_b32 v219, 0
	.loc	1 61 64                         ; persistent_matmul.py:61:64
	s_cmp_ge_i32 s24, s69
	.loc	1 61 24                         ; persistent_matmul.py:61:24
	s_cbranch_scc0 .LBB0_131
.LBB0_58:                               ;   in Loop: Header=BB0_37 Depth=1
	.loc	1 61 64                         ; persistent_matmul.py:61:64
	s_cmp_ge_i32 s25, s69
	.loc	1 61 24                         ; persistent_matmul.py:61:24
	s_cbranch_scc0 .LBB0_132
.LBB0_59:                               ;   in Loop: Header=BB0_37 Depth=1
	.loc	1 0 24                          ; persistent_matmul.py:0:24
	v_dual_mov_b32 v220, 0 :: v_dual_mov_b32 v221, 0
	.loc	1 61 64                         ; persistent_matmul.py:61:64
	s_cmp_ge_i32 s26, s69
	.loc	1 61 24                         ; persistent_matmul.py:61:24
	s_cbranch_scc0 .LBB0_133
.LBB0_60:                               ;   in Loop: Header=BB0_37 Depth=1
	.loc	1 61 64                         ; persistent_matmul.py:61:64
	s_cmp_ge_i32 s27, s69
	.loc	1 61 24                         ; persistent_matmul.py:61:24
	s_cbranch_scc0 .LBB0_134
.LBB0_61:                               ;   in Loop: Header=BB0_37 Depth=1
	.loc	1 0 24                          ; persistent_matmul.py:0:24
	v_dual_mov_b32 v222, 0 :: v_dual_mov_b32 v223, 0
	.loc	1 61 64                         ; persistent_matmul.py:61:64
	s_cmp_ge_i32 s28, s69
	.loc	1 61 24                         ; persistent_matmul.py:61:24
	s_cbranch_scc0 .LBB0_135
.LBB0_62:                               ;   in Loop: Header=BB0_37 Depth=1
	.loc	1 61 64                         ; persistent_matmul.py:61:64
	s_cmp_ge_i32 s29, s69
	.loc	1 61 24                         ; persistent_matmul.py:61:24
	s_cbranch_scc1 .LBB0_64
.LBB0_63:                               ;   in Loop: Header=BB0_37 Depth=1
	.loc	1 56 41 is_stmt 1               ; persistent_matmul.py:56:41
	s_or_b32 s0, s68, s29
	.loc	1 58 60                         ; persistent_matmul.py:58:60
	s_wait_alu depctr_sa_sdst(0)
	v_mad_co_u64_u32 v[136:137], null, s0, s20, v[176:177]
	s_delay_alu instid0(VALU_DEP_1) | instskip(NEXT) | instid1(VALU_DEP_1)
	.loc	1 58 30 is_stmt 0               ; persistent_matmul.py:58:30
	v_ashrrev_i32_e32 v137, 31, v136
	v_lshlrev_b64_e32 v[136:137], 2, v[136:137]
	s_delay_alu instid0(VALU_DEP_1) | instskip(SKIP_1) | instid1(VALU_DEP_2)
	v_add_co_u32 v136, vcc_lo, s14, v136
	s_wait_alu depctr_va_vcc(0)
	v_add_co_ci_u32_e64 v137, null, s15, v137, vcc_lo
	.loc	1 61 24 is_stmt 1               ; persistent_matmul.py:61:24
	global_load_b32 v222, v[136:137], off
.LBB0_64:                               ;   in Loop: Header=BB0_37 Depth=1
	ds_load_b128 v[136:139], v203 offset:20480
	ds_load_b128 v[148:151], v203 offset:20736
	;; [unrolled: 1-line block ×4, first 2 shown]
	.loc	1 43 59                         ; persistent_matmul.py:43:59
	s_and_not1_b32 vcc_lo, exec_lo, s67
	.loc	1 62 39                         ; persistent_matmul.py:62:39
	s_wait_dscnt 0x3
	v_fmac_f32_e32 v26, v156, v137
	v_fmac_f32_e32 v1, v164, v136
	;; [unrolled: 1-line block ×4, first 2 shown]
	s_wait_dscnt 0x2
	v_dual_fmac_f32 v11, v132, v139 :: v_dual_fmac_f32 v26, v157, v149
	v_dual_fmac_f32 v24, v172, v137 :: v_dual_fmac_f32 v1, v165, v148
	s_delay_alu instid0(VALU_DEP_2) | instskip(SKIP_1) | instid1(VALU_DEP_3)
	v_dual_fmac_f32 v18, v156, v138 :: v_dual_fmac_f32 v11, v133, v151
	v_fmac_f32_e32 v25, v164, v137
	v_fmac_f32_e32 v24, v173, v149
	v_dual_fmac_f32 v0, v172, v136 :: v_dual_fmac_f32 v9, v165, v151
	v_fmac_f32_e32 v16, v173, v150
	s_wait_dscnt 0x1
	v_fmac_f32_e32 v26, v158, v153
	v_dual_fmac_f32 v18, v157, v150 :: v_dual_fmac_f32 v27, v132, v137
	v_fmac_f32_e32 v2, v156, v136
	v_dual_fmac_f32 v14, v140, v138 :: v_dual_fmac_f32 v11, v134, v155
	;; [unrolled: 2-line block ×3, first 2 shown]
	v_fmac_f32_e32 v0, v173, v148
	v_fmac_f32_e32 v1, v166, v152
	s_delay_alu instid0(VALU_DEP_4) | instskip(NEXT) | instid1(VALU_DEP_4)
	v_dual_fmac_f32 v24, v174, v153 :: v_dual_fmac_f32 v17, v165, v150
	v_dual_fmac_f32 v8, v173, v151 :: v_dual_fmac_f32 v19, v132, v138
	v_fmac_f32_e32 v9, v166, v155
	s_wait_dscnt 0x0
	v_dual_fmac_f32 v16, v174, v154 :: v_dual_fmac_f32 v1, v167, v144
	v_fmac_f32_e32 v24, v175, v145
	v_dual_fmac_f32 v10, v156, v139 :: v_dual_fmac_f32 v19, v133, v150
	v_fmac_f32_e32 v25, v166, v153
	;; [unrolled: 2-line block ×3, first 2 shown]
	v_fmac_f32_e32 v17, v166, v154
	s_delay_alu instid0(VALU_DEP_4) | instskip(NEXT) | instid1(VALU_DEP_4)
	v_dual_fmac_f32 v8, v174, v155 :: v_dual_fmac_f32 v25, v167, v145
	v_dual_fmac_f32 v0, v175, v144 :: v_dual_fmac_f32 v27, v133, v149
	s_delay_alu instid0(VALU_DEP_3) | instskip(NEXT) | instid1(VALU_DEP_3)
	v_fmac_f32_e32 v17, v167, v146
	v_dual_fmac_f32 v8, v175, v147 :: v_dual_fmac_f32 v29, v160, v136
	v_fmac_f32_e32 v20, v168, v137
	v_dual_fmac_f32 v2, v157, v148 :: v_dual_fmac_f32 v5, v160, v139
	s_delay_alu instid0(VALU_DEP_3) | instskip(NEXT) | instid1(VALU_DEP_3)
	v_dual_fmac_f32 v12, v168, v138 :: v_dual_fmac_f32 v29, v161, v148
	v_fmac_f32_e32 v20, v169, v149
	v_dual_fmac_f32 v10, v157, v151 :: v_dual_fmac_f32 v31, v128, v136
	v_fmac_f32_e32 v21, v160, v137
	;; [unrolled: 2-line block ×3, first 2 shown]
	v_fmac_f32_e32 v13, v160, v138
	s_delay_alu instid0(VALU_DEP_4) | instskip(NEXT) | instid1(VALU_DEP_4)
	v_dual_fmac_f32 v4, v168, v139 :: v_dual_fmac_f32 v21, v161, v149
	v_fmac_f32_e32 v28, v169, v148
	v_dual_fmac_f32 v2, v158, v152 :: v_dual_fmac_f32 v23, v128, v137
	s_delay_alu instid0(VALU_DEP_4) | instskip(NEXT) | instid1(VALU_DEP_4)
	v_fmac_f32_e32 v13, v161, v150
	v_dual_fmac_f32 v4, v169, v151 :: v_dual_fmac_f32 v29, v162, v152
	v_fmac_f32_e32 v20, v170, v153
	v_fmac_f32_e32 v5, v162, v155
	v_fmac_f32_e32 v12, v170, v154
	v_dual_fmac_f32 v18, v158, v154 :: v_dual_fmac_f32 v7, v128, v139
	v_fmac_f32_e32 v29, v163, v144
	v_fmac_f32_e32 v20, v171, v145
	;; [unrolled: 4-line block ×3, first 2 shown]
	s_delay_alu instid0(VALU_DEP_4) | instskip(NEXT) | instid1(VALU_DEP_4)
	v_dual_fmac_f32 v4, v170, v155 :: v_dual_fmac_f32 v21, v163, v145
	v_fmac_f32_e32 v28, v171, v144
	v_dual_fmac_f32 v10, v158, v155 :: v_dual_fmac_f32 v15, v128, v138
	s_delay_alu instid0(VALU_DEP_4) | instskip(NEXT) | instid1(VALU_DEP_4)
	v_fmac_f32_e32 v13, v163, v146
	v_dual_fmac_f32 v4, v171, v147 :: v_dual_fmac_f32 v3, v132, v136
	v_dual_fmac_f32 v2, v159, v144 :: v_dual_fmac_f32 v23, v129, v149
	;; [unrolled: 1-line block ×8, first 2 shown]
	s_delay_alu instid0(VALU_DEP_3) | instskip(SKIP_1) | instid1(VALU_DEP_4)
	v_dual_fmac_f32 v30, v141, v148 :: v_dual_fmac_f32 v23, v130, v153
	v_dual_fmac_f32 v14, v141, v150 :: v_dual_fmac_f32 v7, v130, v155
	v_dual_fmac_f32 v6, v141, v151 :: v_dual_fmac_f32 v15, v130, v154
	s_delay_alu instid0(VALU_DEP_4) | instskip(SKIP_3) | instid1(VALU_DEP_4)
	v_dual_fmac_f32 v3, v134, v152 :: v_dual_fmac_f32 v22, v141, v149
	v_fmac_f32_e32 v31, v130, v152
	v_dual_fmac_f32 v30, v142, v152 :: v_dual_fmac_f32 v27, v135, v145
	v_dual_fmac_f32 v14, v142, v154 :: v_dual_fmac_f32 v11, v135, v147
	;; [unrolled: 1-line block ×4, first 2 shown]
	v_fmac_f32_e32 v31, v131, v144
	v_fmac_f32_e32 v23, v131, v145
	;; [unrolled: 1-line block ×4, first 2 shown]
	.loc	1 61 24                         ; persistent_matmul.py:61:24
	ds_load_b128 v[128:131], v203 offset:21504
	ds_load_b128 v[132:135], v203 offset:21760
	.loc	1 62 39                         ; persistent_matmul.py:62:39
	v_fmac_f32_e32 v30, v143, v144
	v_fmac_f32_e32 v22, v143, v145
	;; [unrolled: 1-line block ×4, first 2 shown]
	.loc	1 61 24                         ; persistent_matmul.py:61:24
	ds_load_b128 v[136:139], v203 offset:22016
	ds_load_b128 v[140:143], v203 offset:22272
	.loc	1 62 39                         ; persistent_matmul.py:62:39
	s_wait_dscnt 0x3
	v_fmac_f32_e32 v24, v124, v129
	v_fmac_f32_e32 v1, v116, v128
	;; [unrolled: 1-line block ×6, first 2 shown]
	s_wait_dscnt 0x2
	v_fmac_f32_e32 v1, v117, v132
	v_fmac_f32_e32 v24, v125, v133
	;; [unrolled: 1-line block ×4, first 2 shown]
	s_wait_dscnt 0x1
	v_dual_fmac_f32 v16, v125, v134 :: v_dual_fmac_f32 v1, v118, v136
	v_fmac_f32_e32 v24, v126, v137
	v_fmac_f32_e32 v8, v124, v131
	;; [unrolled: 1-line block ×5, first 2 shown]
	s_wait_dscnt 0x0
	v_dual_fmac_f32 v24, v127, v141 :: v_dual_fmac_f32 v29, v112, v128
	v_fmac_f32_e32 v9, v118, v139
	v_fmac_f32_e32 v16, v126, v138
	;; [unrolled: 1-line block ×4, first 2 shown]
	v_dual_fmac_f32 v8, v125, v135 :: v_dual_fmac_f32 v25, v118, v137
	v_fmac_f32_e32 v0, v126, v136
	v_dual_fmac_f32 v16, v127, v142 :: v_dual_fmac_f32 v5, v112, v131
	v_dual_fmac_f32 v29, v113, v132 :: v_dual_fmac_f32 v26, v108, v129
	v_fmac_f32_e32 v20, v121, v133
	s_delay_alu instid0(VALU_DEP_4)
	v_dual_fmac_f32 v0, v127, v140 :: v_dual_fmac_f32 v21, v112, v129
	v_dual_fmac_f32 v28, v120, v128 :: v_dual_fmac_f32 v25, v119, v141
	v_fmac_f32_e32 v17, v118, v138
	v_dual_fmac_f32 v8, v126, v139 :: v_dual_fmac_f32 v1, v119, v140
	v_fmac_f32_e32 v9, v119, v143
	v_fmac_f32_e32 v5, v113, v135
	v_dual_fmac_f32 v12, v121, v134 :: v_dual_fmac_f32 v29, v114, v136
	v_fmac_f32_e32 v20, v122, v137
	v_dual_fmac_f32 v8, v127, v143 :: v_dual_fmac_f32 v13, v112, v130
	;; [unrolled: 2-line block ×4, first 2 shown]
	v_fmac_f32_e32 v13, v113, v134
	v_fmac_f32_e32 v21, v114, v137
	;; [unrolled: 1-line block ×3, first 2 shown]
	s_delay_alu instid0(VALU_DEP_4)
	v_fmac_f32_e32 v4, v121, v135
	v_dual_fmac_f32 v5, v115, v143 :: v_dual_fmac_f32 v18, v108, v130
	v_fmac_f32_e32 v13, v114, v138
	v_dual_fmac_f32 v21, v115, v141 :: v_dual_fmac_f32 v2, v108, v128
	;; [unrolled: 2-line block ×3, first 2 shown]
	s_delay_alu instid0(VALU_DEP_3)
	v_dual_fmac_f32 v13, v115, v142 :: v_dual_fmac_f32 v2, v109, v132
	v_fmac_f32_e32 v23, v96, v129
	v_dual_fmac_f32 v26, v109, v133 :: v_dual_fmac_f32 v31, v96, v128
	v_dual_fmac_f32 v18, v109, v134 :: v_dual_fmac_f32 v7, v96, v131
	;; [unrolled: 1-line block ×7, first 2 shown]
	s_delay_alu instid0(VALU_DEP_4) | instskip(NEXT) | instid1(VALU_DEP_4)
	v_dual_fmac_f32 v2, v110, v136 :: v_dual_fmac_f32 v27, v101, v133
	v_dual_fmac_f32 v26, v110, v137 :: v_dual_fmac_f32 v3, v101, v132
	s_delay_alu instid0(VALU_DEP_4) | instskip(NEXT) | instid1(VALU_DEP_4)
	v_dual_fmac_f32 v18, v110, v138 :: v_dual_fmac_f32 v11, v101, v135
	v_dual_fmac_f32 v10, v110, v139 :: v_dual_fmac_f32 v19, v101, v134
	;; [unrolled: 3-line block ×4, first 2 shown]
	v_dual_fmac_f32 v30, v104, v128 :: v_dual_fmac_f32 v27, v102, v137
	v_dual_fmac_f32 v22, v104, v129 :: v_dual_fmac_f32 v3, v102, v136
	;; [unrolled: 1-line block ×4, first 2 shown]
	s_delay_alu instid0(VALU_DEP_4) | instskip(NEXT) | instid1(VALU_DEP_4)
	v_dual_fmac_f32 v30, v105, v132 :: v_dual_fmac_f32 v23, v98, v137
	v_dual_fmac_f32 v22, v105, v133 :: v_dual_fmac_f32 v31, v98, v136
	s_delay_alu instid0(VALU_DEP_4) | instskip(NEXT) | instid1(VALU_DEP_4)
	v_dual_fmac_f32 v14, v105, v134 :: v_dual_fmac_f32 v7, v98, v139
	v_dual_fmac_f32 v6, v105, v135 :: v_dual_fmac_f32 v15, v98, v138
	;; [unrolled: 3-line block ×4, first 2 shown]
	v_fmac_f32_e32 v31, v99, v140
	v_fmac_f32_e32 v23, v99, v141
	;; [unrolled: 1-line block ×4, first 2 shown]
	.loc	1 61 24                         ; persistent_matmul.py:61:24
	ds_load_b128 v[96:99], v203 offset:22528
	ds_load_b128 v[100:103], v203 offset:22784
	.loc	1 62 39                         ; persistent_matmul.py:62:39
	v_fmac_f32_e32 v30, v107, v140
	v_fmac_f32_e32 v22, v107, v141
	;; [unrolled: 1-line block ×4, first 2 shown]
	.loc	1 61 24                         ; persistent_matmul.py:61:24
	ds_load_b128 v[104:107], v203 offset:23040
	ds_load_b128 v[108:111], v203 offset:23296
	.loc	1 62 39                         ; persistent_matmul.py:62:39
	s_wait_dscnt 0x3
	v_fmac_f32_e32 v24, v92, v97
	v_fmac_f32_e32 v1, v84, v96
	;; [unrolled: 1-line block ×6, first 2 shown]
	s_wait_dscnt 0x2
	v_fmac_f32_e32 v1, v85, v100
	v_fmac_f32_e32 v24, v93, v101
	;; [unrolled: 1-line block ×4, first 2 shown]
	s_wait_dscnt 0x1
	v_dual_fmac_f32 v16, v93, v102 :: v_dual_fmac_f32 v1, v86, v104
	v_fmac_f32_e32 v24, v94, v105
	v_fmac_f32_e32 v8, v92, v99
	;; [unrolled: 1-line block ×5, first 2 shown]
	s_wait_dscnt 0x0
	v_dual_fmac_f32 v24, v95, v109 :: v_dual_fmac_f32 v29, v80, v96
	v_fmac_f32_e32 v9, v86, v107
	v_fmac_f32_e32 v16, v94, v106
	;; [unrolled: 1-line block ×4, first 2 shown]
	v_dual_fmac_f32 v8, v93, v103 :: v_dual_fmac_f32 v25, v86, v105
	v_fmac_f32_e32 v0, v94, v104
	v_dual_fmac_f32 v16, v95, v110 :: v_dual_fmac_f32 v5, v80, v99
	v_dual_fmac_f32 v29, v81, v100 :: v_dual_fmac_f32 v26, v72, v97
	v_fmac_f32_e32 v20, v89, v101
	s_delay_alu instid0(VALU_DEP_4)
	v_dual_fmac_f32 v0, v95, v108 :: v_dual_fmac_f32 v21, v80, v97
	v_dual_fmac_f32 v28, v88, v96 :: v_dual_fmac_f32 v25, v87, v109
	v_fmac_f32_e32 v17, v86, v106
	v_dual_fmac_f32 v8, v94, v107 :: v_dual_fmac_f32 v1, v87, v108
	v_fmac_f32_e32 v9, v87, v111
	v_fmac_f32_e32 v5, v81, v103
	v_dual_fmac_f32 v12, v89, v102 :: v_dual_fmac_f32 v29, v82, v104
	v_fmac_f32_e32 v20, v90, v105
	v_dual_fmac_f32 v8, v95, v111 :: v_dual_fmac_f32 v13, v80, v98
	;; [unrolled: 2-line block ×4, first 2 shown]
	v_fmac_f32_e32 v13, v81, v102
	v_fmac_f32_e32 v21, v82, v105
	;; [unrolled: 1-line block ×3, first 2 shown]
	s_delay_alu instid0(VALU_DEP_4)
	v_fmac_f32_e32 v4, v89, v103
	v_dual_fmac_f32 v5, v83, v111 :: v_dual_fmac_f32 v18, v72, v98
	v_fmac_f32_e32 v13, v82, v106
	v_dual_fmac_f32 v21, v83, v109 :: v_dual_fmac_f32 v2, v72, v96
	;; [unrolled: 2-line block ×3, first 2 shown]
	s_delay_alu instid0(VALU_DEP_3)
	v_dual_fmac_f32 v13, v83, v110 :: v_dual_fmac_f32 v2, v73, v100
	v_fmac_f32_e32 v23, v64, v97
	v_dual_fmac_f32 v26, v73, v101 :: v_dual_fmac_f32 v31, v64, v96
	v_dual_fmac_f32 v18, v73, v102 :: v_dual_fmac_f32 v7, v64, v99
	;; [unrolled: 1-line block ×7, first 2 shown]
	s_delay_alu instid0(VALU_DEP_4) | instskip(NEXT) | instid1(VALU_DEP_4)
	v_dual_fmac_f32 v2, v74, v104 :: v_dual_fmac_f32 v27, v69, v101
	v_dual_fmac_f32 v26, v74, v105 :: v_dual_fmac_f32 v3, v69, v100
	s_delay_alu instid0(VALU_DEP_4) | instskip(NEXT) | instid1(VALU_DEP_4)
	v_dual_fmac_f32 v18, v74, v106 :: v_dual_fmac_f32 v11, v69, v103
	v_dual_fmac_f32 v10, v74, v107 :: v_dual_fmac_f32 v19, v69, v102
	;; [unrolled: 3-line block ×4, first 2 shown]
	v_dual_fmac_f32 v30, v76, v96 :: v_dual_fmac_f32 v27, v70, v105
	v_dual_fmac_f32 v22, v76, v97 :: v_dual_fmac_f32 v3, v70, v104
	;; [unrolled: 1-line block ×4, first 2 shown]
	s_delay_alu instid0(VALU_DEP_4) | instskip(NEXT) | instid1(VALU_DEP_4)
	v_dual_fmac_f32 v30, v77, v100 :: v_dual_fmac_f32 v23, v66, v105
	v_dual_fmac_f32 v22, v77, v101 :: v_dual_fmac_f32 v31, v66, v104
	s_delay_alu instid0(VALU_DEP_4) | instskip(NEXT) | instid1(VALU_DEP_4)
	v_dual_fmac_f32 v14, v77, v102 :: v_dual_fmac_f32 v7, v66, v107
	v_dual_fmac_f32 v6, v77, v103 :: v_dual_fmac_f32 v15, v66, v106
	;; [unrolled: 3-line block ×4, first 2 shown]
	v_fmac_f32_e32 v31, v67, v108
	v_fmac_f32_e32 v23, v67, v109
	v_fmac_f32_e32 v15, v67, v110
	v_fmac_f32_e32 v7, v67, v111
	.loc	1 61 24                         ; persistent_matmul.py:61:24
	ds_load_b128 v[64:67], v203 offset:23552
	ds_load_b128 v[68:71], v203 offset:23808
	.loc	1 62 39                         ; persistent_matmul.py:62:39
	v_fmac_f32_e32 v30, v79, v108
	v_fmac_f32_e32 v22, v79, v109
	;; [unrolled: 1-line block ×4, first 2 shown]
	.loc	1 61 24                         ; persistent_matmul.py:61:24
	ds_load_b128 v[72:75], v203 offset:24064
	ds_load_b128 v[76:79], v203 offset:24320
	.loc	1 62 39                         ; persistent_matmul.py:62:39
	s_wait_dscnt 0x3
	v_fmac_f32_e32 v24, v60, v65
	v_fmac_f32_e32 v1, v52, v64
	;; [unrolled: 1-line block ×6, first 2 shown]
	s_wait_dscnt 0x2
	v_fmac_f32_e32 v1, v53, v68
	v_fmac_f32_e32 v24, v61, v69
	;; [unrolled: 1-line block ×4, first 2 shown]
	s_wait_dscnt 0x1
	v_dual_fmac_f32 v16, v61, v70 :: v_dual_fmac_f32 v1, v54, v72
	v_fmac_f32_e32 v24, v62, v73
	v_fmac_f32_e32 v8, v60, v67
	;; [unrolled: 1-line block ×5, first 2 shown]
	s_wait_dscnt 0x0
	v_dual_fmac_f32 v24, v63, v77 :: v_dual_fmac_f32 v29, v48, v64
	v_fmac_f32_e32 v9, v54, v75
	v_fmac_f32_e32 v16, v62, v74
	;; [unrolled: 1-line block ×4, first 2 shown]
	v_dual_fmac_f32 v8, v61, v71 :: v_dual_fmac_f32 v25, v54, v73
	v_fmac_f32_e32 v0, v62, v72
	v_dual_fmac_f32 v16, v63, v78 :: v_dual_fmac_f32 v5, v48, v67
	v_dual_fmac_f32 v29, v49, v68 :: v_dual_fmac_f32 v26, v40, v65
	v_fmac_f32_e32 v20, v57, v69
	s_delay_alu instid0(VALU_DEP_4)
	v_dual_fmac_f32 v0, v63, v76 :: v_dual_fmac_f32 v21, v48, v65
	v_dual_fmac_f32 v28, v56, v64 :: v_dual_fmac_f32 v25, v55, v77
	v_fmac_f32_e32 v17, v54, v74
	v_dual_fmac_f32 v8, v62, v75 :: v_dual_fmac_f32 v1, v55, v76
	v_fmac_f32_e32 v9, v55, v79
	v_fmac_f32_e32 v5, v49, v71
	v_dual_fmac_f32 v12, v57, v70 :: v_dual_fmac_f32 v29, v50, v72
	v_fmac_f32_e32 v20, v58, v73
	v_dual_fmac_f32 v8, v63, v79 :: v_dual_fmac_f32 v13, v48, v66
	;; [unrolled: 2-line block ×4, first 2 shown]
	v_fmac_f32_e32 v13, v49, v70
	v_fmac_f32_e32 v21, v50, v73
	;; [unrolled: 1-line block ×3, first 2 shown]
	s_delay_alu instid0(VALU_DEP_4) | instskip(SKIP_3) | instid1(VALU_DEP_4)
	v_fmac_f32_e32 v4, v57, v71
	v_dual_fmac_f32 v5, v51, v79 :: v_dual_fmac_f32 v18, v40, v66
	v_fmac_f32_e32 v13, v50, v74
	v_dual_fmac_f32 v21, v51, v77 :: v_dual_fmac_f32 v2, v40, v64
	v_dual_fmac_f32 v4, v58, v75 :: v_dual_fmac_f32 v29, v51, v76
	s_delay_alu instid0(VALU_DEP_3)
	v_dual_fmac_f32 v13, v51, v78 :: v_dual_fmac_f32 v10, v40, v67
	v_dual_fmac_f32 v28, v59, v76 :: v_dual_fmac_f32 v27, v36, v65
	;; [unrolled: 1-line block ×9, first 2 shown]
	s_delay_alu instid0(VALU_DEP_4) | instskip(NEXT) | instid1(VALU_DEP_4)
	v_dual_fmac_f32 v2, v42, v72 :: v_dual_fmac_f32 v27, v37, v69
	v_dual_fmac_f32 v26, v42, v73 :: v_dual_fmac_f32 v3, v37, v68
	s_delay_alu instid0(VALU_DEP_4) | instskip(NEXT) | instid1(VALU_DEP_4)
	v_dual_fmac_f32 v18, v42, v74 :: v_dual_fmac_f32 v11, v37, v71
	v_dual_fmac_f32 v10, v42, v75 :: v_dual_fmac_f32 v19, v37, v70
	;; [unrolled: 3-line block ×4, first 2 shown]
	v_dual_fmac_f32 v2, v43, v76 :: v_dual_fmac_f32 v23, v33, v69
	v_dual_fmac_f32 v26, v43, v77 :: v_dual_fmac_f32 v31, v33, v68
	;; [unrolled: 1-line block ×4, first 2 shown]
	s_delay_alu instid0(VALU_DEP_4) | instskip(NEXT) | instid1(VALU_DEP_4)
	v_dual_fmac_f32 v30, v45, v68 :: v_dual_fmac_f32 v23, v34, v73
	v_dual_fmac_f32 v22, v45, v69 :: v_dual_fmac_f32 v31, v34, v72
	s_delay_alu instid0(VALU_DEP_4) | instskip(NEXT) | instid1(VALU_DEP_4)
	v_dual_fmac_f32 v14, v45, v70 :: v_dual_fmac_f32 v7, v34, v75
	v_dual_fmac_f32 v6, v45, v71 :: v_dual_fmac_f32 v15, v34, v74
	;; [unrolled: 3-line block ×4, first 2 shown]
	s_delay_alu instid0(VALU_DEP_4) | instskip(NEXT) | instid1(VALU_DEP_4)
	v_fmac_f32_e32 v30, v47, v76
	v_fmac_f32_e32 v22, v47, v77
	s_delay_alu instid0(VALU_DEP_4) | instskip(NEXT) | instid1(VALU_DEP_4)
	v_fmac_f32_e32 v14, v47, v78
	v_fmac_f32_e32 v6, v47, v79
	;; [unrolled: 1-line block ×6, first 2 shown]
	.loc	1 43 59                         ; persistent_matmul.py:43:59
	s_wait_alu depctr_sa_sdst(0)
	s_cbranch_vccnz .LBB0_36
; %bb.65:                               ;   in Loop: Header=BB0_37 Depth=1
	.loc	1 64 21                         ; persistent_matmul.py:64:21
	s_addk_co_i32 s65, 0x68
	.loc	1 74 25                         ; persistent_matmul.py:74:25
	ds_store_b128 v204, v[24:27] offset:4096
	ds_store_b128 v204, v[20:23] offset:4224
.Ltmp32:
	.loc	1 10 26                         ; persistent_matmul.py:10:26 @[ persistent_matmul.py:65:90 ]
	s_abs_i32 s0, s65
.Ltmp33:
	.loc	1 74 25                         ; persistent_matmul.py:74:25
	ds_store_b128 v205, v[16:19] offset:8192
	ds_store_b128 v205, v[12:15] offset:8320
.Ltmp34:
	.loc	1 10 26                         ; persistent_matmul.py:10:26 @[ persistent_matmul.py:65:90 ]
	s_wait_alu depctr_sa_sdst(0)
	s_mul_u64 s[68:69], s[0:1], s[8:9]
	s_ashr_i32 s68, s65, 31
	s_wait_alu depctr_sa_sdst(0)
	s_mul_i32 s70, s69, s59
	s_xor_b32 s71, s68, s60
	s_wait_alu depctr_sa_sdst(0)
	s_sub_co_i32 s70, s0, s70
	s_add_co_i32 s72, s69, 1
	s_wait_alu depctr_sa_sdst(0)
	s_sub_co_i32 s73, s70, s59
	s_cmp_ge_u32 s70, s59
.Ltmp35:
	.loc	1 74 25                         ; persistent_matmul.py:74:25
	ds_store_b128 v206, v[8:11] offset:12288
	ds_store_b128 v206, v[4:7] offset:12416
.Ltmp36:
	.loc	1 10 26                         ; persistent_matmul.py:10:26 @[ persistent_matmul.py:65:90 ]
	s_cselect_b32 s69, s72, s69
	s_wait_alu depctr_sa_sdst(0)
	s_cselect_b32 s70, s73, s70
	s_add_co_i32 s72, s69, 1
	s_wait_alu depctr_sa_sdst(0)
	s_cmp_ge_u32 s70, s59
	s_cselect_b32 s69, s72, s69
	s_wait_alu depctr_sa_sdst(0)
	s_xor_b32 s69, s69, s71
	s_wait_alu depctr_sa_sdst(0)
	s_sub_co_i32 s69, s69, s71
	.loc	1 11 29                         ; persistent_matmul.py:11:29 @[ persistent_matmul.py:65:90 ]
	s_wait_alu depctr_sa_sdst(0)
	s_lshl_b32 s70, s69, 3
	.loc	1 14 23                         ; persistent_matmul.py:14:23 @[ persistent_matmul.py:65:90 ]
	s_mul_i32 s69, s69, s38
	.loc	1 12 35                         ; persistent_matmul.py:12:35 @[ persistent_matmul.py:65:90 ]
	s_wait_alu depctr_sa_sdst(0)
	s_sub_co_i32 s71, s36, s70
	.loc	1 12 48 is_stmt 0               ; persistent_matmul.py:12:48 @[ persistent_matmul.py:65:90 ]
	s_wait_alu depctr_sa_sdst(0)
	s_min_i32 s71, s71, 8
	.loc	1 13 37 is_stmt 1               ; persistent_matmul.py:13:37 @[ persistent_matmul.py:65:90 ]
	s_wait_alu depctr_sa_sdst(0)
	s_abs_i32 s72, s71
	s_wait_alu depctr_sa_sdst(0)
	s_cvt_f32_u32 s73, s72
	s_sub_co_i32 s74, 0, s72
	s_wait_alu depctr_sa_sdst(0)
	s_delay_alu instid0(SALU_CYCLE_1) | instskip(NEXT) | instid1(TRANS32_DEP_1)
	v_rcp_iflag_f32_e32 v32, s73
	v_readfirstlane_b32 s73, v32
.Ltmp37:
	.loc	1 74 25                         ; persistent_matmul.py:74:25
	v_add_nc_u32_e32 v32, 0, v201
	ds_store_b128 v32, v[0:3]
	ds_store_b128 v32, v[28:31] offset:128
.Ltmp38:
	.loc	1 13 37                         ; persistent_matmul.py:13:37 @[ persistent_matmul.py:65:90 ]
	s_mul_f32 s73, s73, 0x4f7ffffe
.Ltmp39:
	.loc	1 74 25                         ; persistent_matmul.py:74:25
	s_wait_loadcnt_dscnt 0x0
	s_barrier_signal -1
.Ltmp40:
	.loc	1 13 37                         ; persistent_matmul.py:13:37 @[ persistent_matmul.py:65:90 ]
	s_wait_alu depctr_sa_sdst(0)
	s_cvt_u32_f32 s73, s73
	s_wait_alu depctr_sa_sdst(0)
	s_delay_alu instid0(SALU_CYCLE_2)
	s_mul_i32 s74, s74, s73
	s_wait_alu depctr_sa_sdst(0)
	s_mul_hi_u32 s74, s73, s74
	s_wait_alu depctr_sa_sdst(0)
	s_add_co_i32 s73, s73, s74
	s_wait_alu depctr_sa_sdst(0)
	s_mul_hi_u32 s74, s0, s73
	s_wait_alu depctr_sa_sdst(0)
	s_mul_i32 s74, s74, s72
	s_wait_alu depctr_sa_sdst(0)
	s_sub_co_i32 s0, s0, s74
.Ltmp41:
	.loc	1 74 25                         ; persistent_matmul.py:74:25
	s_barrier_wait -1
.Ltmp42:
	.loc	1 13 37                         ; persistent_matmul.py:13:37 @[ persistent_matmul.py:65:90 ]
	s_wait_alu depctr_sa_sdst(0)
	s_sub_co_i32 s74, s0, s72
	s_cmp_ge_u32 s0, s72
.Ltmp43:
	.loc	1 74 25                         ; persistent_matmul.py:74:25
	global_inv scope:SCOPE_SE
.Ltmp44:
	.loc	1 13 37                         ; persistent_matmul.py:13:37 @[ persistent_matmul.py:65:90 ]
	s_wait_alu depctr_sa_sdst(0)
	s_cselect_b32 s0, s74, s0
.Ltmp45:
	.loc	1 74 25                         ; persistent_matmul.py:74:25
	ds_load_b128 v[52:55], v207 offset:512
	ds_load_b128 v[48:51], v207 offset:768
	;; [unrolled: 1-line block ×6, first 2 shown]
.Ltmp46:
	.loc	1 13 37                         ; persistent_matmul.py:13:37 @[ persistent_matmul.py:65:90 ]
	s_wait_alu depctr_sa_sdst(0)
	s_sub_co_i32 s74, s0, s72
	s_cmp_ge_u32 s0, s72
.Ltmp47:
	.loc	1 74 25                         ; persistent_matmul.py:74:25
	ds_load_b128 v[60:63], v207
	ds_load_b128 v[56:59], v207 offset:256
.Ltmp48:
	.loc	1 13 37                         ; persistent_matmul.py:13:37 @[ persistent_matmul.py:65:90 ]
	s_wait_alu depctr_sa_sdst(0)
	s_cselect_b32 s0, s74, s0
	.loc	1 14 23                         ; persistent_matmul.py:14:23 @[ persistent_matmul.py:65:90 ]
	s_sub_co_i32 s69, s65, s69
	.loc	1 13 37                         ; persistent_matmul.py:13:37 @[ persistent_matmul.py:65:90 ]
	s_wait_alu depctr_sa_sdst(0)
	s_xor_b32 s0, s0, s68
	.loc	1 14 44                         ; persistent_matmul.py:14:44 @[ persistent_matmul.py:65:90 ]
	s_xor_b32 s71, s69, s71
	s_abs_i32 s69, s69
	.loc	1 13 37                         ; persistent_matmul.py:13:37 @[ persistent_matmul.py:65:90 ]
	s_wait_alu depctr_sa_sdst(0)
	s_sub_co_i32 s0, s0, s68
	.loc	1 14 44                         ; persistent_matmul.py:14:44 @[ persistent_matmul.py:65:90 ]
	s_mul_hi_u32 s68, s69, s73
	.loc	1 13 27                         ; persistent_matmul.py:13:27 @[ persistent_matmul.py:65:90 ]
	s_wait_alu depctr_sa_sdst(0)
	s_add_co_i32 s70, s70, s0
	.loc	1 14 44                         ; persistent_matmul.py:14:44 @[ persistent_matmul.py:65:90 ]
	s_mul_i32 s73, s68, s72
	s_ashr_i32 s71, s71, 31
	s_wait_alu depctr_sa_sdst(0)
	s_sub_co_i32 s0, s69, s73
	s_add_co_i32 s69, s68, 1
	s_wait_alu depctr_sa_sdst(0)
	s_sub_co_i32 s73, s0, s72
	s_cmp_ge_u32 s0, s72
	s_cselect_b32 s68, s69, s68
	s_wait_alu depctr_sa_sdst(0)
	s_cselect_b32 s0, s73, s0
	s_add_co_i32 s69, s68, 1
	s_wait_alu depctr_sa_sdst(0)
	s_cmp_ge_u32 s0, s72
	s_cselect_b32 s0, s69, s68
.Ltmp49:
	.loc	1 66 26                         ; persistent_matmul.py:66:26
	s_lshl_b32 s68, s70, 6
.Ltmp50:
	.loc	1 14 44                         ; persistent_matmul.py:14:44 @[ persistent_matmul.py:65:90 ]
	s_wait_alu depctr_sa_sdst(0)
	s_xor_b32 s0, s0, s71
	s_wait_alu depctr_sa_sdst(0)
	s_sub_co_i32 s0, s0, s71
.Ltmp51:
	.loc	1 67 41                         ; persistent_matmul.py:67:41
	s_wait_alu depctr_sa_sdst(0)
	v_lshl_or_b32 v66, s0, 6, v177
	.loc	1 66 41                         ; persistent_matmul.py:66:41
	s_or_b32 s0, s68, s22
	.loc	1 69 37                         ; persistent_matmul.py:69:37
	s_wait_alu depctr_sa_sdst(0)
	s_cmp_lt_i32 s0, s6
	s_delay_alu instid0(VALU_DEP_1) | instskip(SKIP_4) | instid1(VALU_DEP_2)
	.loc	1 68 68                         ; persistent_matmul.py:68:68
	v_mul_lo_u32 v64, v66, s3
	.loc	1 69 62                         ; persistent_matmul.py:69:62
	v_cmp_gt_i32_e32 vcc_lo, s7, v66
	.loc	1 69 37 is_stmt 0               ; persistent_matmul.py:69:37
	s_cselect_b32 s69, -1, 0
	.loc	1 69 43                         ; persistent_matmul.py:69:43
	s_wait_alu depctr_sa_sdst(0)
	s_and_b32 s70, s69, vcc_lo
	.loc	1 68 56 is_stmt 1               ; persistent_matmul.py:68:56
	v_ashrrev_i32_e32 v65, 31, v64
	s_delay_alu instid0(VALU_DEP_1)
	v_lshlrev_b64_e32 v[64:65], 2, v[64:65]
	.loc	1 74 25                         ; persistent_matmul.py:74:25
	s_wait_alu depctr_sa_sdst(0)
	s_and_saveexec_b32 s69, s70
	s_cbranch_execz .LBB0_67
; %bb.66:                               ;   in Loop: Header=BB0_37 Depth=1
	.loc	1 0 25 is_stmt 0                ; persistent_matmul.py:0:25
	s_mul_i32 s70, s0, s2
	s_wait_alu depctr_sa_sdst(0)
	s_ashr_i32 s71, s70, 31
	s_wait_alu depctr_sa_sdst(0)
	s_lshl_b64 s[70:71], s[70:71], 2
	s_wait_alu depctr_sa_sdst(0)
	s_add_nc_u64 s[70:71], s[4:5], s[70:71]
	s_wait_alu depctr_sa_sdst(0)
	v_add_co_u32 v66, s0, s70, v64
	s_wait_alu depctr_va_sdst(0)
	v_add_co_ci_u32_e64 v67, null, s71, v65, s0
	.loc	1 74 25                         ; persistent_matmul.py:74:25
	s_wait_dscnt 0x1
	global_store_b32 v[66:67], v60, off
.LBB0_67:                               ;   in Loop: Header=BB0_37 Depth=1
	.loc	1 0 25                          ; persistent_matmul.py:0:25
	s_wait_alu depctr_sa_sdst(0)
	s_or_b32 exec_lo, exec_lo, s69
	.loc	1 66 41 is_stmt 1               ; persistent_matmul.py:66:41
	s_or_b32 s0, s68, s23
	.loc	1 69 37                         ; persistent_matmul.py:69:37
	s_wait_alu depctr_sa_sdst(0)
	s_cmp_lt_i32 s0, s6
	s_cselect_b32 s69, -1, 0
	.loc	1 69 43 is_stmt 0               ; persistent_matmul.py:69:43
	s_wait_alu depctr_sa_sdst(0)
	s_and_b32 s70, s69, vcc_lo
	.loc	1 74 25 is_stmt 1               ; persistent_matmul.py:74:25
	s_wait_alu depctr_sa_sdst(0)
	s_and_saveexec_b32 s69, s70
	s_cbranch_execz .LBB0_69
; %bb.68:                               ;   in Loop: Header=BB0_37 Depth=1
	.loc	1 68 37                         ; persistent_matmul.py:68:37
	s_mul_i32 s70, s0, s2
	.loc	1 68 25 is_stmt 0               ; persistent_matmul.py:68:25
	s_wait_alu depctr_sa_sdst(0)
	s_ashr_i32 s71, s70, 31
	s_wait_alu depctr_sa_sdst(0)
	s_lshl_b64 s[70:71], s[70:71], 2
	s_wait_alu depctr_sa_sdst(0)
	s_add_nc_u64 s[70:71], s[4:5], s[70:71]
	.loc	1 68 56                         ; persistent_matmul.py:68:56
	s_wait_alu depctr_sa_sdst(0)
	v_add_co_u32 v66, s0, s70, v64
	s_wait_alu depctr_va_sdst(0)
	v_add_co_ci_u32_e64 v67, null, s71, v65, s0
	.loc	1 74 25 is_stmt 1               ; persistent_matmul.py:74:25
	s_wait_dscnt 0x1
	global_store_b32 v[66:67], v61, off
.LBB0_69:                               ;   in Loop: Header=BB0_37 Depth=1
	.loc	1 0 25 is_stmt 0                ; persistent_matmul.py:0:25
	s_wait_alu depctr_sa_sdst(0)
	s_or_b32 exec_lo, exec_lo, s69
	.loc	1 66 41 is_stmt 1               ; persistent_matmul.py:66:41
	s_or_b32 s0, s68, s24
	.loc	1 69 37                         ; persistent_matmul.py:69:37
	s_wait_alu depctr_sa_sdst(0)
	s_cmp_lt_i32 s0, s6
	s_cselect_b32 s69, -1, 0
	.loc	1 69 43 is_stmt 0               ; persistent_matmul.py:69:43
	s_wait_alu depctr_sa_sdst(0)
	s_and_b32 s70, s69, vcc_lo
	.loc	1 74 25 is_stmt 1               ; persistent_matmul.py:74:25
	s_wait_alu depctr_sa_sdst(0)
	s_and_saveexec_b32 s69, s70
	s_cbranch_execz .LBB0_71
; %bb.70:                               ;   in Loop: Header=BB0_37 Depth=1
	.loc	1 68 37                         ; persistent_matmul.py:68:37
	s_mul_i32 s70, s0, s2
	.loc	1 68 25 is_stmt 0               ; persistent_matmul.py:68:25
	s_wait_alu depctr_sa_sdst(0)
	s_ashr_i32 s71, s70, 31
	s_wait_alu depctr_sa_sdst(0)
	s_lshl_b64 s[70:71], s[70:71], 2
	s_wait_alu depctr_sa_sdst(0)
	s_add_nc_u64 s[70:71], s[4:5], s[70:71]
	.loc	1 68 56                         ; persistent_matmul.py:68:56
	s_wait_dscnt 0x1
	s_wait_alu depctr_sa_sdst(0)
	v_add_co_u32 v60, s0, s70, v64
	s_wait_alu depctr_va_sdst(0)
	v_add_co_ci_u32_e64 v61, null, s71, v65, s0
	.loc	1 74 25 is_stmt 1               ; persistent_matmul.py:74:25
	s_wait_dscnt 0x0
	global_store_b32 v[60:61], v56, off
.LBB0_71:                               ;   in Loop: Header=BB0_37 Depth=1
	.loc	1 0 25 is_stmt 0                ; persistent_matmul.py:0:25
	s_wait_alu depctr_sa_sdst(0)
	s_or_b32 exec_lo, exec_lo, s69
	.loc	1 66 41 is_stmt 1               ; persistent_matmul.py:66:41
	s_or_b32 s0, s68, s25
	.loc	1 69 37                         ; persistent_matmul.py:69:37
	s_wait_alu depctr_sa_sdst(0)
	s_cmp_lt_i32 s0, s6
	s_cselect_b32 s69, -1, 0
	.loc	1 69 43 is_stmt 0               ; persistent_matmul.py:69:43
	s_wait_alu depctr_sa_sdst(0)
	s_and_b32 s70, s69, vcc_lo
	.loc	1 74 25 is_stmt 1               ; persistent_matmul.py:74:25
	s_wait_alu depctr_sa_sdst(0)
	s_and_saveexec_b32 s69, s70
	s_cbranch_execz .LBB0_73
; %bb.72:                               ;   in Loop: Header=BB0_37 Depth=1
	.loc	1 68 37                         ; persistent_matmul.py:68:37
	s_mul_i32 s70, s0, s2
	.loc	1 68 25 is_stmt 0               ; persistent_matmul.py:68:25
	s_wait_alu depctr_sa_sdst(0)
	s_ashr_i32 s71, s70, 31
	s_wait_alu depctr_sa_sdst(0)
	s_lshl_b64 s[70:71], s[70:71], 2
	s_wait_alu depctr_sa_sdst(0)
	s_add_nc_u64 s[70:71], s[4:5], s[70:71]
	.loc	1 68 56                         ; persistent_matmul.py:68:56
	s_wait_dscnt 0x1
	s_wait_alu depctr_sa_sdst(0)
	v_add_co_u32 v60, s0, s70, v64
	s_wait_alu depctr_va_sdst(0)
	v_add_co_ci_u32_e64 v61, null, s71, v65, s0
	.loc	1 74 25 is_stmt 1               ; persistent_matmul.py:74:25
	s_wait_dscnt 0x0
	global_store_b32 v[60:61], v57, off
.LBB0_73:                               ;   in Loop: Header=BB0_37 Depth=1
	.loc	1 0 25 is_stmt 0                ; persistent_matmul.py:0:25
	s_wait_alu depctr_sa_sdst(0)
	s_or_b32 exec_lo, exec_lo, s69
	.loc	1 66 41 is_stmt 1               ; persistent_matmul.py:66:41
	s_or_b32 s0, s68, s26
	.loc	1 69 37                         ; persistent_matmul.py:69:37
	s_wait_alu depctr_sa_sdst(0)
	s_cmp_lt_i32 s0, s6
	s_cselect_b32 s69, -1, 0
	.loc	1 69 43 is_stmt 0               ; persistent_matmul.py:69:43
	s_wait_alu depctr_sa_sdst(0)
	s_and_b32 s70, s69, vcc_lo
	.loc	1 74 25 is_stmt 1               ; persistent_matmul.py:74:25
	s_wait_alu depctr_sa_sdst(0)
	s_and_saveexec_b32 s69, s70
	s_cbranch_execz .LBB0_75
; %bb.74:                               ;   in Loop: Header=BB0_37 Depth=1
	.loc	1 68 37                         ; persistent_matmul.py:68:37
	s_mul_i32 s70, s0, s2
	.loc	1 68 25 is_stmt 0               ; persistent_matmul.py:68:25
	s_wait_alu depctr_sa_sdst(0)
	s_ashr_i32 s71, s70, 31
	s_wait_alu depctr_sa_sdst(0)
	s_lshl_b64 s[70:71], s[70:71], 2
	s_wait_alu depctr_sa_sdst(0)
	s_add_nc_u64 s[70:71], s[4:5], s[70:71]
	.loc	1 68 56                         ; persistent_matmul.py:68:56
	s_wait_dscnt 0x0
	s_wait_alu depctr_sa_sdst(0)
	v_add_co_u32 v56, s0, s70, v64
	s_wait_alu depctr_va_sdst(0)
	v_add_co_ci_u32_e64 v57, null, s71, v65, s0
	.loc	1 74 25 is_stmt 1               ; persistent_matmul.py:74:25
	global_store_b32 v[56:57], v52, off
.LBB0_75:                               ;   in Loop: Header=BB0_37 Depth=1
	.loc	1 0 25 is_stmt 0                ; persistent_matmul.py:0:25
	s_wait_alu depctr_sa_sdst(0)
	s_or_b32 exec_lo, exec_lo, s69
	.loc	1 66 41 is_stmt 1               ; persistent_matmul.py:66:41
	s_or_b32 s0, s68, s27
	.loc	1 69 37                         ; persistent_matmul.py:69:37
	s_wait_alu depctr_sa_sdst(0)
	s_cmp_lt_i32 s0, s6
	s_cselect_b32 s69, -1, 0
	.loc	1 69 43 is_stmt 0               ; persistent_matmul.py:69:43
	s_wait_alu depctr_sa_sdst(0)
	s_and_b32 s70, s69, vcc_lo
	.loc	1 74 25 is_stmt 1               ; persistent_matmul.py:74:25
	s_wait_alu depctr_sa_sdst(0)
	s_and_saveexec_b32 s69, s70
	s_cbranch_execz .LBB0_77
; %bb.76:                               ;   in Loop: Header=BB0_37 Depth=1
	.loc	1 68 37                         ; persistent_matmul.py:68:37
	s_mul_i32 s70, s0, s2
	.loc	1 68 25 is_stmt 0               ; persistent_matmul.py:68:25
	s_wait_alu depctr_sa_sdst(0)
	s_ashr_i32 s71, s70, 31
	s_wait_alu depctr_sa_sdst(0)
	s_lshl_b64 s[70:71], s[70:71], 2
	s_wait_alu depctr_sa_sdst(0)
	s_add_nc_u64 s[70:71], s[4:5], s[70:71]
	.loc	1 68 56                         ; persistent_matmul.py:68:56
	s_wait_dscnt 0x0
	s_wait_alu depctr_sa_sdst(0)
	v_add_co_u32 v56, s0, s70, v64
	s_wait_alu depctr_va_sdst(0)
	v_add_co_ci_u32_e64 v57, null, s71, v65, s0
	.loc	1 74 25 is_stmt 1               ; persistent_matmul.py:74:25
	global_store_b32 v[56:57], v53, off
.LBB0_77:                               ;   in Loop: Header=BB0_37 Depth=1
	.loc	1 0 25 is_stmt 0                ; persistent_matmul.py:0:25
	s_wait_alu depctr_sa_sdst(0)
	s_or_b32 exec_lo, exec_lo, s69
	.loc	1 66 41 is_stmt 1               ; persistent_matmul.py:66:41
	s_or_b32 s0, s68, s28
	.loc	1 69 37                         ; persistent_matmul.py:69:37
	s_wait_alu depctr_sa_sdst(0)
	s_cmp_lt_i32 s0, s6
	s_cselect_b32 s69, -1, 0
	.loc	1 69 43 is_stmt 0               ; persistent_matmul.py:69:43
	s_wait_alu depctr_sa_sdst(0)
	s_and_b32 s70, s69, vcc_lo
	.loc	1 74 25 is_stmt 1               ; persistent_matmul.py:74:25
	s_wait_alu depctr_sa_sdst(0)
	s_and_saveexec_b32 s69, s70
	s_cbranch_execz .LBB0_79
; %bb.78:                               ;   in Loop: Header=BB0_37 Depth=1
	.loc	1 68 37                         ; persistent_matmul.py:68:37
	s_mul_i32 s70, s0, s2
	.loc	1 68 25 is_stmt 0               ; persistent_matmul.py:68:25
	s_wait_alu depctr_sa_sdst(0)
	s_ashr_i32 s71, s70, 31
	s_wait_alu depctr_sa_sdst(0)
	s_lshl_b64 s[70:71], s[70:71], 2
	s_wait_alu depctr_sa_sdst(0)
	s_add_nc_u64 s[70:71], s[4:5], s[70:71]
	.loc	1 68 56                         ; persistent_matmul.py:68:56
	s_wait_dscnt 0x7
	s_wait_alu depctr_sa_sdst(0)
	v_add_co_u32 v52, s0, s70, v64
	s_wait_alu depctr_va_sdst(0)
	v_add_co_ci_u32_e64 v53, null, s71, v65, s0
	.loc	1 74 25 is_stmt 1               ; persistent_matmul.py:74:25
	s_wait_dscnt 0x6
	global_store_b32 v[52:53], v48, off
.LBB0_79:                               ;   in Loop: Header=BB0_37 Depth=1
	.loc	1 0 25 is_stmt 0                ; persistent_matmul.py:0:25
	s_wait_alu depctr_sa_sdst(0)
	s_or_b32 exec_lo, exec_lo, s69
	.loc	1 66 41 is_stmt 1               ; persistent_matmul.py:66:41
	s_or_b32 s0, s68, s29
	.loc	1 69 37                         ; persistent_matmul.py:69:37
	s_wait_alu depctr_sa_sdst(0)
	s_cmp_lt_i32 s0, s6
	s_cselect_b32 s69, -1, 0
	.loc	1 69 43 is_stmt 0               ; persistent_matmul.py:69:43
	s_wait_alu depctr_sa_sdst(0)
	s_and_b32 s70, s69, vcc_lo
	.loc	1 74 25 is_stmt 1               ; persistent_matmul.py:74:25
	s_wait_alu depctr_sa_sdst(0)
	s_and_saveexec_b32 s69, s70
	s_cbranch_execz .LBB0_81
; %bb.80:                               ;   in Loop: Header=BB0_37 Depth=1
	.loc	1 68 37                         ; persistent_matmul.py:68:37
	s_mul_i32 s70, s0, s2
	.loc	1 68 25 is_stmt 0               ; persistent_matmul.py:68:25
	s_wait_alu depctr_sa_sdst(0)
	s_ashr_i32 s71, s70, 31
	s_wait_alu depctr_sa_sdst(0)
	s_lshl_b64 s[70:71], s[70:71], 2
	s_wait_alu depctr_sa_sdst(0)
	s_add_nc_u64 s[70:71], s[4:5], s[70:71]
	.loc	1 68 56                         ; persistent_matmul.py:68:56
	s_wait_dscnt 0x7
	s_wait_alu depctr_sa_sdst(0)
	v_add_co_u32 v52, s0, s70, v64
	s_wait_alu depctr_va_sdst(0)
	v_add_co_ci_u32_e64 v53, null, s71, v65, s0
	.loc	1 74 25 is_stmt 1               ; persistent_matmul.py:74:25
	s_wait_dscnt 0x6
	global_store_b32 v[52:53], v49, off
.LBB0_81:                               ;   in Loop: Header=BB0_37 Depth=1
	;; [unrolled: 36-line block ×11, first 2 shown]
	.loc	1 0 25 is_stmt 0                ; persistent_matmul.py:0:25
	s_wait_alu depctr_sa_sdst(0)
	s_or_b32 exec_lo, exec_lo, s69
	.loc	1 66 41 is_stmt 1               ; persistent_matmul.py:66:41
	s_or_b32 s0, s68, s43
	.loc	1 69 37                         ; persistent_matmul.py:69:37
	s_wait_alu depctr_sa_sdst(0)
	s_cmp_lt_i32 s0, s6
	s_cselect_b32 s69, -1, 0
	.loc	1 69 43 is_stmt 0               ; persistent_matmul.py:69:43
	s_wait_alu depctr_sa_sdst(0)
	s_and_b32 s70, s69, vcc_lo
	.loc	1 74 25 is_stmt 1               ; persistent_matmul.py:74:25
	s_wait_alu depctr_sa_sdst(0)
	s_and_saveexec_b32 s69, s70
	s_cbranch_execz .LBB0_101
; %bb.100:                              ;   in Loop: Header=BB0_37 Depth=1
	.loc	1 68 37                         ; persistent_matmul.py:68:37
	s_mul_i32 s70, s0, s2
	.loc	1 68 25 is_stmt 0               ; persistent_matmul.py:68:25
	s_wait_alu depctr_sa_sdst(0)
	s_ashr_i32 s71, s70, 31
	s_wait_alu depctr_sa_sdst(0)
	s_lshl_b64 s[70:71], s[70:71], 2
	s_wait_alu depctr_sa_sdst(0)
	s_add_nc_u64 s[70:71], s[4:5], s[70:71]
	.loc	1 68 56                         ; persistent_matmul.py:68:56
	s_wait_dscnt 0x2
	s_wait_alu depctr_sa_sdst(0)
	v_add_co_u32 v32, s0, s70, v64
	s_wait_alu depctr_va_sdst(0)
	v_add_co_ci_u32_e64 v33, null, s71, v65, s0
	.loc	1 74 25 is_stmt 1               ; persistent_matmul.py:74:25
	s_wait_dscnt 0x1
	global_store_b32 v[32:33], v63, off
.LBB0_101:                              ;   in Loop: Header=BB0_37 Depth=1
	.loc	1 0 25 is_stmt 0                ; persistent_matmul.py:0:25
	s_wait_alu depctr_sa_sdst(0)
	s_or_b32 exec_lo, exec_lo, s69
	.loc	1 66 41 is_stmt 1               ; persistent_matmul.py:66:41
	s_or_b32 s0, s68, s44
	.loc	1 69 37                         ; persistent_matmul.py:69:37
	s_wait_alu depctr_sa_sdst(0)
	s_cmp_lt_i32 s0, s6
	s_cselect_b32 s69, -1, 0
	.loc	1 69 43 is_stmt 0               ; persistent_matmul.py:69:43
	s_wait_alu depctr_sa_sdst(0)
	s_and_b32 s70, s69, vcc_lo
	.loc	1 74 25 is_stmt 1               ; persistent_matmul.py:74:25
	s_wait_alu depctr_sa_sdst(0)
	s_and_saveexec_b32 s69, s70
	s_cbranch_execz .LBB0_103
; %bb.102:                              ;   in Loop: Header=BB0_37 Depth=1
	.loc	1 68 37                         ; persistent_matmul.py:68:37
	s_mul_i32 s70, s0, s2
	.loc	1 68 25 is_stmt 0               ; persistent_matmul.py:68:25
	s_wait_alu depctr_sa_sdst(0)
	s_ashr_i32 s71, s70, 31
	s_wait_alu depctr_sa_sdst(0)
	s_lshl_b64 s[70:71], s[70:71], 2
	s_wait_alu depctr_sa_sdst(0)
	s_add_nc_u64 s[70:71], s[4:5], s[70:71]
	.loc	1 68 56                         ; persistent_matmul.py:68:56
	s_wait_dscnt 0x2
	s_wait_alu depctr_sa_sdst(0)
	v_add_co_u32 v32, s0, s70, v64
	s_wait_alu depctr_va_sdst(0)
	v_add_co_ci_u32_e64 v33, null, s71, v65, s0
	.loc	1 74 25 is_stmt 1               ; persistent_matmul.py:74:25
	s_wait_dscnt 0x0
	global_store_b32 v[32:33], v58, off
.LBB0_103:                              ;   in Loop: Header=BB0_37 Depth=1
	;; [unrolled: 36-line block ×3, first 2 shown]
	.loc	1 0 25 is_stmt 0                ; persistent_matmul.py:0:25
	s_wait_alu depctr_sa_sdst(0)
	s_or_b32 exec_lo, exec_lo, s69
	.loc	1 66 41 is_stmt 1               ; persistent_matmul.py:66:41
	s_or_b32 s0, s68, s46
	.loc	1 69 37                         ; persistent_matmul.py:69:37
	s_wait_alu depctr_sa_sdst(0)
	s_cmp_lt_i32 s0, s6
	s_cselect_b32 s69, -1, 0
	.loc	1 69 43 is_stmt 0               ; persistent_matmul.py:69:43
	s_wait_alu depctr_sa_sdst(0)
	s_and_b32 s70, s69, vcc_lo
	.loc	1 74 25 is_stmt 1               ; persistent_matmul.py:74:25
	s_wait_alu depctr_sa_sdst(0)
	s_and_saveexec_b32 s69, s70
	s_cbranch_execz .LBB0_107
; %bb.106:                              ;   in Loop: Header=BB0_37 Depth=1
	.loc	1 68 37                         ; persistent_matmul.py:68:37
	s_mul_i32 s70, s0, s2
	.loc	1 68 25 is_stmt 0               ; persistent_matmul.py:68:25
	s_wait_alu depctr_sa_sdst(0)
	s_ashr_i32 s71, s70, 31
	s_wait_alu depctr_sa_sdst(0)
	s_lshl_b64 s[70:71], s[70:71], 2
	s_wait_alu depctr_sa_sdst(0)
	s_add_nc_u64 s[70:71], s[4:5], s[70:71]
	.loc	1 68 56                         ; persistent_matmul.py:68:56
	s_wait_dscnt 0x2
	s_wait_alu depctr_sa_sdst(0)
	v_add_co_u32 v32, s0, s70, v64
	s_wait_alu depctr_va_sdst(0)
	v_add_co_ci_u32_e64 v33, null, s71, v65, s0
	.loc	1 74 25 is_stmt 1               ; persistent_matmul.py:74:25
	global_store_b32 v[32:33], v54, off
.LBB0_107:                              ;   in Loop: Header=BB0_37 Depth=1
	.loc	1 0 25 is_stmt 0                ; persistent_matmul.py:0:25
	s_wait_alu depctr_sa_sdst(0)
	s_or_b32 exec_lo, exec_lo, s69
	.loc	1 66 41 is_stmt 1               ; persistent_matmul.py:66:41
	s_or_b32 s0, s68, s47
	.loc	1 69 37                         ; persistent_matmul.py:69:37
	s_wait_alu depctr_sa_sdst(0)
	s_cmp_lt_i32 s0, s6
	s_cselect_b32 s69, -1, 0
	.loc	1 69 43 is_stmt 0               ; persistent_matmul.py:69:43
	s_wait_alu depctr_sa_sdst(0)
	s_and_b32 s70, s69, vcc_lo
	.loc	1 74 25 is_stmt 1               ; persistent_matmul.py:74:25
	s_wait_alu depctr_sa_sdst(0)
	s_and_saveexec_b32 s69, s70
	s_cbranch_execz .LBB0_109
; %bb.108:                              ;   in Loop: Header=BB0_37 Depth=1
	.loc	1 68 37                         ; persistent_matmul.py:68:37
	s_mul_i32 s70, s0, s2
	.loc	1 68 25 is_stmt 0               ; persistent_matmul.py:68:25
	s_wait_alu depctr_sa_sdst(0)
	s_ashr_i32 s71, s70, 31
	s_wait_alu depctr_sa_sdst(0)
	s_lshl_b64 s[70:71], s[70:71], 2
	s_wait_alu depctr_sa_sdst(0)
	s_add_nc_u64 s[70:71], s[4:5], s[70:71]
	.loc	1 68 56                         ; persistent_matmul.py:68:56
	s_wait_dscnt 0x2
	s_wait_alu depctr_sa_sdst(0)
	v_add_co_u32 v32, s0, s70, v64
	s_wait_alu depctr_va_sdst(0)
	v_add_co_ci_u32_e64 v33, null, s71, v65, s0
	.loc	1 74 25 is_stmt 1               ; persistent_matmul.py:74:25
	global_store_b32 v[32:33], v55, off
.LBB0_109:                              ;   in Loop: Header=BB0_37 Depth=1
	.loc	1 0 25 is_stmt 0                ; persistent_matmul.py:0:25
	s_wait_alu depctr_sa_sdst(0)
	s_or_b32 exec_lo, exec_lo, s69
	.loc	1 66 41 is_stmt 1               ; persistent_matmul.py:66:41
	s_or_b32 s0, s68, s48
	.loc	1 69 37                         ; persistent_matmul.py:69:37
	s_wait_alu depctr_sa_sdst(0)
	s_cmp_lt_i32 s0, s6
	s_cselect_b32 s69, -1, 0
	.loc	1 69 43 is_stmt 0               ; persistent_matmul.py:69:43
	s_wait_alu depctr_sa_sdst(0)
	s_and_b32 s70, s69, vcc_lo
	.loc	1 74 25 is_stmt 1               ; persistent_matmul.py:74:25
	s_wait_alu depctr_sa_sdst(0)
	s_and_saveexec_b32 s69, s70
	s_cbranch_execz .LBB0_111
; %bb.110:                              ;   in Loop: Header=BB0_37 Depth=1
	.loc	1 68 37                         ; persistent_matmul.py:68:37
	s_mul_i32 s70, s0, s2
	.loc	1 68 25 is_stmt 0               ; persistent_matmul.py:68:25
	s_wait_alu depctr_sa_sdst(0)
	s_ashr_i32 s71, s70, 31
	s_wait_alu depctr_sa_sdst(0)
	s_lshl_b64 s[70:71], s[70:71], 2
	s_wait_alu depctr_sa_sdst(0)
	s_add_nc_u64 s[70:71], s[4:5], s[70:71]
	.loc	1 68 56                         ; persistent_matmul.py:68:56
	s_wait_dscnt 0x2
	s_wait_alu depctr_sa_sdst(0)
	v_add_co_u32 v32, s0, s70, v64
	s_wait_alu depctr_va_sdst(0)
	v_add_co_ci_u32_e64 v33, null, s71, v65, s0
	.loc	1 74 25 is_stmt 1               ; persistent_matmul.py:74:25
	global_store_b32 v[32:33], v50, off
.LBB0_111:                              ;   in Loop: Header=BB0_37 Depth=1
	.loc	1 0 25 is_stmt 0                ; persistent_matmul.py:0:25
	s_wait_alu depctr_sa_sdst(0)
	s_or_b32 exec_lo, exec_lo, s69
	.loc	1 66 41 is_stmt 1               ; persistent_matmul.py:66:41
	s_or_b32 s0, s68, s49
	.loc	1 69 37                         ; persistent_matmul.py:69:37
	s_wait_alu depctr_sa_sdst(0)
	s_cmp_lt_i32 s0, s6
	s_cselect_b32 s69, -1, 0
	.loc	1 69 43 is_stmt 0               ; persistent_matmul.py:69:43
	s_wait_alu depctr_sa_sdst(0)
	s_and_b32 s70, s69, vcc_lo
	.loc	1 74 25 is_stmt 1               ; persistent_matmul.py:74:25
	s_wait_alu depctr_sa_sdst(0)
	s_and_saveexec_b32 s69, s70
	s_cbranch_execz .LBB0_113
; %bb.112:                              ;   in Loop: Header=BB0_37 Depth=1
	.loc	1 68 37                         ; persistent_matmul.py:68:37
	s_mul_i32 s70, s0, s2
	.loc	1 68 25 is_stmt 0               ; persistent_matmul.py:68:25
	s_wait_alu depctr_sa_sdst(0)
	s_ashr_i32 s71, s70, 31
	s_wait_alu depctr_sa_sdst(0)
	s_lshl_b64 s[70:71], s[70:71], 2
	s_wait_alu depctr_sa_sdst(0)
	s_add_nc_u64 s[70:71], s[4:5], s[70:71]
	.loc	1 68 56                         ; persistent_matmul.py:68:56
	s_wait_dscnt 0x2
	s_wait_alu depctr_sa_sdst(0)
	v_add_co_u32 v32, s0, s70, v64
	s_wait_alu depctr_va_sdst(0)
	v_add_co_ci_u32_e64 v33, null, s71, v65, s0
	.loc	1 74 25 is_stmt 1               ; persistent_matmul.py:74:25
	global_store_b32 v[32:33], v51, off
.LBB0_113:                              ;   in Loop: Header=BB0_37 Depth=1
	.loc	1 0 25 is_stmt 0                ; persistent_matmul.py:0:25
	s_wait_alu depctr_sa_sdst(0)
	s_or_b32 exec_lo, exec_lo, s69
	.loc	1 66 41 is_stmt 1               ; persistent_matmul.py:66:41
	s_or_b32 s0, s68, s50
	.loc	1 69 37                         ; persistent_matmul.py:69:37
	s_wait_alu depctr_sa_sdst(0)
	s_cmp_lt_i32 s0, s6
	s_cselect_b32 s69, -1, 0
	.loc	1 69 43 is_stmt 0               ; persistent_matmul.py:69:43
	s_wait_alu depctr_sa_sdst(0)
	s_and_b32 s70, s69, vcc_lo
	.loc	1 74 25 is_stmt 1               ; persistent_matmul.py:74:25
	s_wait_alu depctr_sa_sdst(0)
	s_and_saveexec_b32 s69, s70
	s_cbranch_execz .LBB0_115
; %bb.114:                              ;   in Loop: Header=BB0_37 Depth=1
	.loc	1 68 37                         ; persistent_matmul.py:68:37
	s_mul_i32 s70, s0, s2
	.loc	1 68 25 is_stmt 0               ; persistent_matmul.py:68:25
	s_wait_alu depctr_sa_sdst(0)
	s_ashr_i32 s71, s70, 31
	s_wait_alu depctr_sa_sdst(0)
	s_lshl_b64 s[70:71], s[70:71], 2
	s_wait_alu depctr_sa_sdst(0)
	s_add_nc_u64 s[70:71], s[4:5], s[70:71]
	.loc	1 68 56                         ; persistent_matmul.py:68:56
	s_wait_dscnt 0x2
	s_wait_alu depctr_sa_sdst(0)
	v_add_co_u32 v32, s0, s70, v64
	s_wait_alu depctr_va_sdst(0)
	v_add_co_ci_u32_e64 v33, null, s71, v65, s0
	.loc	1 74 25 is_stmt 1               ; persistent_matmul.py:74:25
	global_store_b32 v[32:33], v46, off
.LBB0_115:                              ;   in Loop: Header=BB0_37 Depth=1
	.loc	1 0 25 is_stmt 0                ; persistent_matmul.py:0:25
	s_wait_alu depctr_sa_sdst(0)
	s_or_b32 exec_lo, exec_lo, s69
	.loc	1 66 41 is_stmt 1               ; persistent_matmul.py:66:41
	s_or_b32 s0, s68, s51
	.loc	1 69 37                         ; persistent_matmul.py:69:37
	s_wait_alu depctr_sa_sdst(0)
	s_cmp_lt_i32 s0, s6
	s_cselect_b32 s69, -1, 0
	.loc	1 69 43 is_stmt 0               ; persistent_matmul.py:69:43
	s_wait_alu depctr_sa_sdst(0)
	s_and_b32 s70, s69, vcc_lo
	.loc	1 74 25 is_stmt 1               ; persistent_matmul.py:74:25
	s_wait_alu depctr_sa_sdst(0)
	s_and_saveexec_b32 s69, s70
	s_cbranch_execz .LBB0_117
; %bb.116:                              ;   in Loop: Header=BB0_37 Depth=1
	.loc	1 68 37                         ; persistent_matmul.py:68:37
	s_mul_i32 s70, s0, s2
	.loc	1 68 25 is_stmt 0               ; persistent_matmul.py:68:25
	s_wait_alu depctr_sa_sdst(0)
	s_ashr_i32 s71, s70, 31
	s_wait_alu depctr_sa_sdst(0)
	s_lshl_b64 s[70:71], s[70:71], 2
	s_wait_alu depctr_sa_sdst(0)
	s_add_nc_u64 s[70:71], s[4:5], s[70:71]
	.loc	1 68 56                         ; persistent_matmul.py:68:56
	s_wait_dscnt 0x2
	s_wait_alu depctr_sa_sdst(0)
	v_add_co_u32 v32, s0, s70, v64
	s_wait_alu depctr_va_sdst(0)
	v_add_co_ci_u32_e64 v33, null, s71, v65, s0
	.loc	1 74 25 is_stmt 1               ; persistent_matmul.py:74:25
	global_store_b32 v[32:33], v47, off
.LBB0_117:                              ;   in Loop: Header=BB0_37 Depth=1
	.loc	1 0 25 is_stmt 0                ; persistent_matmul.py:0:25
	s_wait_alu depctr_sa_sdst(0)
	s_or_b32 exec_lo, exec_lo, s69
	.loc	1 66 41 is_stmt 1               ; persistent_matmul.py:66:41
	s_or_b32 s0, s68, s52
	.loc	1 69 37                         ; persistent_matmul.py:69:37
	s_wait_alu depctr_sa_sdst(0)
	s_cmp_lt_i32 s0, s6
	s_cselect_b32 s69, -1, 0
	.loc	1 69 43 is_stmt 0               ; persistent_matmul.py:69:43
	s_wait_alu depctr_sa_sdst(0)
	s_and_b32 s70, s69, vcc_lo
	.loc	1 74 25 is_stmt 1               ; persistent_matmul.py:74:25
	s_wait_alu depctr_sa_sdst(0)
	s_and_saveexec_b32 s69, s70
	s_cbranch_execz .LBB0_119
; %bb.118:                              ;   in Loop: Header=BB0_37 Depth=1
	.loc	1 68 37                         ; persistent_matmul.py:68:37
	s_mul_i32 s70, s0, s2
	.loc	1 68 25 is_stmt 0               ; persistent_matmul.py:68:25
	s_wait_alu depctr_sa_sdst(0)
	s_ashr_i32 s71, s70, 31
	s_wait_alu depctr_sa_sdst(0)
	s_lshl_b64 s[70:71], s[70:71], 2
	s_wait_alu depctr_sa_sdst(0)
	s_add_nc_u64 s[70:71], s[4:5], s[70:71]
	.loc	1 68 56                         ; persistent_matmul.py:68:56
	s_wait_dscnt 0x2
	s_wait_alu depctr_sa_sdst(0)
	v_add_co_u32 v32, s0, s70, v64
	s_wait_alu depctr_va_sdst(0)
	v_add_co_ci_u32_e64 v33, null, s71, v65, s0
	.loc	1 74 25 is_stmt 1               ; persistent_matmul.py:74:25
	global_store_b32 v[32:33], v42, off
.LBB0_119:                              ;   in Loop: Header=BB0_37 Depth=1
	.loc	1 0 25 is_stmt 0                ; persistent_matmul.py:0:25
	s_wait_alu depctr_sa_sdst(0)
	s_or_b32 exec_lo, exec_lo, s69
	.loc	1 66 41 is_stmt 1               ; persistent_matmul.py:66:41
	s_or_b32 s0, s68, s53
	.loc	1 69 37                         ; persistent_matmul.py:69:37
	s_wait_alu depctr_sa_sdst(0)
	s_cmp_lt_i32 s0, s6
	s_cselect_b32 s69, -1, 0
	.loc	1 69 43 is_stmt 0               ; persistent_matmul.py:69:43
	s_wait_alu depctr_sa_sdst(0)
	s_and_b32 s70, s69, vcc_lo
	.loc	1 74 25 is_stmt 1               ; persistent_matmul.py:74:25
	s_wait_alu depctr_sa_sdst(0)
	s_and_saveexec_b32 s69, s70
	s_cbranch_execz .LBB0_121
; %bb.120:                              ;   in Loop: Header=BB0_37 Depth=1
	.loc	1 68 37                         ; persistent_matmul.py:68:37
	s_mul_i32 s70, s0, s2
	.loc	1 68 25 is_stmt 0               ; persistent_matmul.py:68:25
	s_wait_alu depctr_sa_sdst(0)
	s_ashr_i32 s71, s70, 31
	s_wait_alu depctr_sa_sdst(0)
	s_lshl_b64 s[70:71], s[70:71], 2
	s_wait_alu depctr_sa_sdst(0)
	s_add_nc_u64 s[70:71], s[4:5], s[70:71]
	.loc	1 68 56                         ; persistent_matmul.py:68:56
	s_wait_dscnt 0x2
	s_wait_alu depctr_sa_sdst(0)
	v_add_co_u32 v32, s0, s70, v64
	s_wait_alu depctr_va_sdst(0)
	v_add_co_ci_u32_e64 v33, null, s71, v65, s0
	.loc	1 74 25 is_stmt 1               ; persistent_matmul.py:74:25
	global_store_b32 v[32:33], v43, off
.LBB0_121:                              ;   in Loop: Header=BB0_37 Depth=1
	.loc	1 0 25 is_stmt 0                ; persistent_matmul.py:0:25
	s_wait_alu depctr_sa_sdst(0)
	s_or_b32 exec_lo, exec_lo, s69
	.loc	1 66 41 is_stmt 1               ; persistent_matmul.py:66:41
	s_or_b32 s0, s68, s54
	.loc	1 69 37                         ; persistent_matmul.py:69:37
	s_wait_alu depctr_sa_sdst(0)
	s_cmp_lt_i32 s0, s6
	s_cselect_b32 s69, -1, 0
	.loc	1 69 43 is_stmt 0               ; persistent_matmul.py:69:43
	s_wait_alu depctr_sa_sdst(0)
	s_and_b32 s70, s69, vcc_lo
	.loc	1 74 25 is_stmt 1               ; persistent_matmul.py:74:25
	s_wait_alu depctr_sa_sdst(0)
	s_and_saveexec_b32 s69, s70
	s_cbranch_execz .LBB0_123
; %bb.122:                              ;   in Loop: Header=BB0_37 Depth=1
	.loc	1 68 37                         ; persistent_matmul.py:68:37
	s_mul_i32 s70, s0, s2
	.loc	1 68 25 is_stmt 0               ; persistent_matmul.py:68:25
	s_wait_alu depctr_sa_sdst(0)
	s_ashr_i32 s71, s70, 31
	s_wait_alu depctr_sa_sdst(0)
	s_lshl_b64 s[70:71], s[70:71], 2
	s_wait_alu depctr_sa_sdst(0)
	s_add_nc_u64 s[70:71], s[4:5], s[70:71]
	.loc	1 68 56                         ; persistent_matmul.py:68:56
	s_wait_dscnt 0x2
	s_wait_alu depctr_sa_sdst(0)
	v_add_co_u32 v32, s0, s70, v64
	s_wait_alu depctr_va_sdst(0)
	v_add_co_ci_u32_e64 v33, null, s71, v65, s0
	.loc	1 74 25 is_stmt 1               ; persistent_matmul.py:74:25
	global_store_b32 v[32:33], v38, off
.LBB0_123:                              ;   in Loop: Header=BB0_37 Depth=1
	.loc	1 0 25 is_stmt 0                ; persistent_matmul.py:0:25
	s_wait_alu depctr_sa_sdst(0)
	s_or_b32 exec_lo, exec_lo, s69
	.loc	1 66 41 is_stmt 1               ; persistent_matmul.py:66:41
	s_or_b32 s0, s68, s55
	.loc	1 69 37                         ; persistent_matmul.py:69:37
	s_wait_alu depctr_sa_sdst(0)
	s_cmp_lt_i32 s0, s6
	s_cselect_b32 s69, -1, 0
	.loc	1 69 43 is_stmt 0               ; persistent_matmul.py:69:43
	s_wait_alu depctr_sa_sdst(0)
	s_and_b32 s70, s69, vcc_lo
	.loc	1 74 25 is_stmt 1               ; persistent_matmul.py:74:25
	s_wait_alu depctr_sa_sdst(0)
	s_and_saveexec_b32 s69, s70
	s_cbranch_execz .LBB0_125
; %bb.124:                              ;   in Loop: Header=BB0_37 Depth=1
	.loc	1 68 37                         ; persistent_matmul.py:68:37
	s_mul_i32 s70, s0, s2
	.loc	1 68 25 is_stmt 0               ; persistent_matmul.py:68:25
	s_wait_alu depctr_sa_sdst(0)
	s_ashr_i32 s71, s70, 31
	s_wait_alu depctr_sa_sdst(0)
	s_lshl_b64 s[70:71], s[70:71], 2
	s_wait_alu depctr_sa_sdst(0)
	s_add_nc_u64 s[70:71], s[4:5], s[70:71]
	.loc	1 68 56                         ; persistent_matmul.py:68:56
	s_wait_dscnt 0x2
	s_wait_alu depctr_sa_sdst(0)
	v_add_co_u32 v32, s0, s70, v64
	s_wait_alu depctr_va_sdst(0)
	v_add_co_ci_u32_e64 v33, null, s71, v65, s0
	.loc	1 74 25 is_stmt 1               ; persistent_matmul.py:74:25
	global_store_b32 v[32:33], v39, off
.LBB0_125:                              ;   in Loop: Header=BB0_37 Depth=1
	.loc	1 0 25 is_stmt 0                ; persistent_matmul.py:0:25
	s_wait_alu depctr_sa_sdst(0)
	s_or_b32 exec_lo, exec_lo, s69
	.loc	1 66 41 is_stmt 1               ; persistent_matmul.py:66:41
	s_or_b32 s0, s68, s56
	.loc	1 69 37                         ; persistent_matmul.py:69:37
	s_wait_alu depctr_sa_sdst(0)
	s_cmp_lt_i32 s0, s6
	s_cselect_b32 s69, -1, 0
	.loc	1 69 43 is_stmt 0               ; persistent_matmul.py:69:43
	s_wait_alu depctr_sa_sdst(0)
	s_and_b32 s70, s69, vcc_lo
	.loc	1 74 25 is_stmt 1               ; persistent_matmul.py:74:25
	s_wait_alu depctr_sa_sdst(0)
	s_and_saveexec_b32 s69, s70
	s_cbranch_execz .LBB0_127
; %bb.126:                              ;   in Loop: Header=BB0_37 Depth=1
	.loc	1 68 37                         ; persistent_matmul.py:68:37
	s_mul_i32 s70, s0, s2
	.loc	1 68 25 is_stmt 0               ; persistent_matmul.py:68:25
	s_wait_alu depctr_sa_sdst(0)
	s_ashr_i32 s71, s70, 31
	s_wait_alu depctr_sa_sdst(0)
	s_lshl_b64 s[70:71], s[70:71], 2
	s_wait_alu depctr_sa_sdst(0)
	s_add_nc_u64 s[70:71], s[4:5], s[70:71]
	.loc	1 68 56                         ; persistent_matmul.py:68:56
	s_wait_dscnt 0x2
	s_wait_alu depctr_sa_sdst(0)
	v_add_co_u32 v32, s0, s70, v64
	s_wait_alu depctr_va_sdst(0)
	v_add_co_ci_u32_e64 v33, null, s71, v65, s0
	.loc	1 74 25 is_stmt 1               ; persistent_matmul.py:74:25
	global_store_b32 v[32:33], v34, off
.LBB0_127:                              ;   in Loop: Header=BB0_37 Depth=1
	.loc	1 0 25 is_stmt 0                ; persistent_matmul.py:0:25
	s_wait_alu depctr_sa_sdst(0)
	s_or_b32 exec_lo, exec_lo, s69
	.loc	1 66 41 is_stmt 1               ; persistent_matmul.py:66:41
	s_or_b32 s68, s68, s57
	.loc	1 69 37                         ; persistent_matmul.py:69:37
	s_wait_alu depctr_sa_sdst(0)
	s_cmp_lt_i32 s68, s6
	s_cselect_b32 s0, -1, 0
	.loc	1 69 43 is_stmt 0               ; persistent_matmul.py:69:43
	s_wait_alu depctr_sa_sdst(0)
	s_and_b32 s69, s0, vcc_lo
	.loc	1 74 25 is_stmt 1               ; persistent_matmul.py:74:25
	s_wait_alu depctr_sa_sdst(0)
	s_and_saveexec_b32 s0, s69
	s_cbranch_execz .LBB0_35
; %bb.128:                              ;   in Loop: Header=BB0_37 Depth=1
	.loc	1 68 37                         ; persistent_matmul.py:68:37
	s_mul_i32 s68, s68, s2
	.loc	1 68 25 is_stmt 0               ; persistent_matmul.py:68:25
	s_wait_alu depctr_sa_sdst(0)
	s_ashr_i32 s69, s68, 31
	s_wait_alu depctr_sa_sdst(0)
	s_lshl_b64 s[68:69], s[68:69], 2
	s_wait_alu depctr_sa_sdst(0)
	s_add_nc_u64 s[68:69], s[4:5], s[68:69]
	.loc	1 68 56                         ; persistent_matmul.py:68:56
	s_wait_dscnt 0x2
	s_wait_alu depctr_sa_sdst(0)
	v_add_co_u32 v32, vcc_lo, s68, v64
	s_wait_alu depctr_va_vcc(0)
	v_add_co_ci_u32_e64 v33, null, s69, v65, vcc_lo
	.loc	1 74 25 is_stmt 1               ; persistent_matmul.py:74:25
	global_store_b32 v[32:33], v35, off
	s_branch .LBB0_35
.LBB0_129:                              ;   in Loop: Header=BB0_37 Depth=1
	.loc	1 56 41                         ; persistent_matmul.py:56:41
	s_or_b32 s0, s68, s22
	.loc	1 58 60                         ; persistent_matmul.py:58:60
	s_wait_alu depctr_sa_sdst(0)
	v_mad_co_u64_u32 v[136:137], null, s0, s20, v[176:177]
	s_delay_alu instid0(VALU_DEP_1) | instskip(NEXT) | instid1(VALU_DEP_1)
	.loc	1 58 30 is_stmt 0               ; persistent_matmul.py:58:30
	v_ashrrev_i32_e32 v137, 31, v136
	v_lshlrev_b64_e32 v[136:137], 2, v[136:137]
	s_delay_alu instid0(VALU_DEP_1) | instskip(SKIP_1) | instid1(VALU_DEP_2)
	v_add_co_u32 v136, vcc_lo, s14, v136
	s_wait_alu depctr_va_vcc(0)
	v_add_co_ci_u32_e64 v137, null, s15, v137, vcc_lo
	.loc	1 61 24 is_stmt 1               ; persistent_matmul.py:61:24
	global_load_b32 v217, v[136:137], off
	.loc	1 61 64 is_stmt 0               ; persistent_matmul.py:61:64
	s_cmp_ge_i32 s23, s69
	.loc	1 61 24                         ; persistent_matmul.py:61:24
	s_cbranch_scc1 .LBB0_57
.LBB0_130:                              ;   in Loop: Header=BB0_37 Depth=1
	.loc	1 56 41 is_stmt 1               ; persistent_matmul.py:56:41
	s_or_b32 s0, s68, s23
	.loc	1 58 60                         ; persistent_matmul.py:58:60
	s_wait_alu depctr_sa_sdst(0)
	v_mad_co_u64_u32 v[136:137], null, s0, s20, v[176:177]
	s_delay_alu instid0(VALU_DEP_1) | instskip(NEXT) | instid1(VALU_DEP_1)
	.loc	1 58 30 is_stmt 0               ; persistent_matmul.py:58:30
	v_ashrrev_i32_e32 v137, 31, v136
	v_lshlrev_b64_e32 v[136:137], 2, v[136:137]
	s_delay_alu instid0(VALU_DEP_1) | instskip(SKIP_1) | instid1(VALU_DEP_2)
	v_add_co_u32 v136, vcc_lo, s14, v136
	s_wait_alu depctr_va_vcc(0)
	v_add_co_ci_u32_e64 v137, null, s15, v137, vcc_lo
	.loc	1 61 24 is_stmt 1               ; persistent_matmul.py:61:24
	global_load_b32 v216, v[136:137], off
	v_dual_mov_b32 v218, 0 :: v_dual_mov_b32 v219, 0
	.loc	1 61 64 is_stmt 0               ; persistent_matmul.py:61:64
	s_cmp_ge_i32 s24, s69
	.loc	1 61 24                         ; persistent_matmul.py:61:24
	s_cbranch_scc1 .LBB0_58
.LBB0_131:                              ;   in Loop: Header=BB0_37 Depth=1
	.loc	1 56 41 is_stmt 1               ; persistent_matmul.py:56:41
	s_or_b32 s0, s68, s24
	.loc	1 58 60                         ; persistent_matmul.py:58:60
	s_wait_alu depctr_sa_sdst(0)
	v_mad_co_u64_u32 v[136:137], null, s0, s20, v[176:177]
	s_delay_alu instid0(VALU_DEP_1) | instskip(NEXT) | instid1(VALU_DEP_1)
	.loc	1 58 30 is_stmt 0               ; persistent_matmul.py:58:30
	v_ashrrev_i32_e32 v137, 31, v136
	v_lshlrev_b64_e32 v[136:137], 2, v[136:137]
	s_delay_alu instid0(VALU_DEP_1) | instskip(SKIP_1) | instid1(VALU_DEP_2)
	v_add_co_u32 v136, vcc_lo, s14, v136
	s_wait_alu depctr_va_vcc(0)
	v_add_co_ci_u32_e64 v137, null, s15, v137, vcc_lo
	.loc	1 61 24 is_stmt 1               ; persistent_matmul.py:61:24
	global_load_b32 v219, v[136:137], off
	.loc	1 61 64 is_stmt 0               ; persistent_matmul.py:61:64
	s_cmp_ge_i32 s25, s69
	.loc	1 61 24                         ; persistent_matmul.py:61:24
	s_cbranch_scc1 .LBB0_59
.LBB0_132:                              ;   in Loop: Header=BB0_37 Depth=1
	.loc	1 56 41 is_stmt 1               ; persistent_matmul.py:56:41
	s_or_b32 s0, s68, s25
	.loc	1 58 60                         ; persistent_matmul.py:58:60
	s_wait_alu depctr_sa_sdst(0)
	v_mad_co_u64_u32 v[136:137], null, s0, s20, v[176:177]
	s_delay_alu instid0(VALU_DEP_1) | instskip(NEXT) | instid1(VALU_DEP_1)
	.loc	1 58 30 is_stmt 0               ; persistent_matmul.py:58:30
	v_ashrrev_i32_e32 v137, 31, v136
	v_lshlrev_b64_e32 v[136:137], 2, v[136:137]
	s_delay_alu instid0(VALU_DEP_1) | instskip(SKIP_1) | instid1(VALU_DEP_2)
	v_add_co_u32 v136, vcc_lo, s14, v136
	s_wait_alu depctr_va_vcc(0)
	v_add_co_ci_u32_e64 v137, null, s15, v137, vcc_lo
	.loc	1 61 24 is_stmt 1               ; persistent_matmul.py:61:24
	global_load_b32 v218, v[136:137], off
	v_dual_mov_b32 v220, 0 :: v_dual_mov_b32 v221, 0
	.loc	1 61 64 is_stmt 0               ; persistent_matmul.py:61:64
	s_cmp_ge_i32 s26, s69
	.loc	1 61 24                         ; persistent_matmul.py:61:24
	s_cbranch_scc1 .LBB0_60
.LBB0_133:                              ;   in Loop: Header=BB0_37 Depth=1
	.loc	1 56 41 is_stmt 1               ; persistent_matmul.py:56:41
	s_or_b32 s0, s68, s26
	.loc	1 58 60                         ; persistent_matmul.py:58:60
	s_wait_alu depctr_sa_sdst(0)
	v_mad_co_u64_u32 v[136:137], null, s0, s20, v[176:177]
	s_delay_alu instid0(VALU_DEP_1) | instskip(NEXT) | instid1(VALU_DEP_1)
	.loc	1 58 30 is_stmt 0               ; persistent_matmul.py:58:30
	v_ashrrev_i32_e32 v137, 31, v136
	v_lshlrev_b64_e32 v[136:137], 2, v[136:137]
	s_delay_alu instid0(VALU_DEP_1) | instskip(SKIP_1) | instid1(VALU_DEP_2)
	v_add_co_u32 v136, vcc_lo, s14, v136
	s_wait_alu depctr_va_vcc(0)
	v_add_co_ci_u32_e64 v137, null, s15, v137, vcc_lo
	.loc	1 61 24 is_stmt 1               ; persistent_matmul.py:61:24
	global_load_b32 v221, v[136:137], off
	.loc	1 61 64 is_stmt 0               ; persistent_matmul.py:61:64
	s_cmp_ge_i32 s27, s69
	.loc	1 61 24                         ; persistent_matmul.py:61:24
	s_cbranch_scc1 .LBB0_61
.LBB0_134:                              ;   in Loop: Header=BB0_37 Depth=1
	.loc	1 56 41 is_stmt 1               ; persistent_matmul.py:56:41
	s_or_b32 s0, s68, s27
	.loc	1 58 60                         ; persistent_matmul.py:58:60
	s_wait_alu depctr_sa_sdst(0)
	v_mad_co_u64_u32 v[136:137], null, s0, s20, v[176:177]
	s_delay_alu instid0(VALU_DEP_1) | instskip(NEXT) | instid1(VALU_DEP_1)
	.loc	1 58 30 is_stmt 0               ; persistent_matmul.py:58:30
	v_ashrrev_i32_e32 v137, 31, v136
	v_lshlrev_b64_e32 v[136:137], 2, v[136:137]
	s_delay_alu instid0(VALU_DEP_1) | instskip(SKIP_1) | instid1(VALU_DEP_2)
	v_add_co_u32 v136, vcc_lo, s14, v136
	s_wait_alu depctr_va_vcc(0)
	v_add_co_ci_u32_e64 v137, null, s15, v137, vcc_lo
	.loc	1 61 24 is_stmt 1               ; persistent_matmul.py:61:24
	global_load_b32 v220, v[136:137], off
	v_dual_mov_b32 v222, 0 :: v_dual_mov_b32 v223, 0
	.loc	1 61 64 is_stmt 0               ; persistent_matmul.py:61:64
	s_cmp_ge_i32 s28, s69
	.loc	1 61 24                         ; persistent_matmul.py:61:24
	s_cbranch_scc1 .LBB0_62
.LBB0_135:                              ;   in Loop: Header=BB0_37 Depth=1
	.loc	1 56 41 is_stmt 1               ; persistent_matmul.py:56:41
	s_or_b32 s0, s68, s28
	.loc	1 58 60                         ; persistent_matmul.py:58:60
	s_wait_alu depctr_sa_sdst(0)
	v_mad_co_u64_u32 v[136:137], null, s0, s20, v[176:177]
	s_delay_alu instid0(VALU_DEP_1) | instskip(NEXT) | instid1(VALU_DEP_1)
	.loc	1 58 30 is_stmt 0               ; persistent_matmul.py:58:30
	v_ashrrev_i32_e32 v137, 31, v136
	v_lshlrev_b64_e32 v[136:137], 2, v[136:137]
	s_delay_alu instid0(VALU_DEP_1) | instskip(SKIP_1) | instid1(VALU_DEP_2)
	v_add_co_u32 v136, vcc_lo, s14, v136
	s_wait_alu depctr_va_vcc(0)
	v_add_co_ci_u32_e64 v137, null, s15, v137, vcc_lo
	.loc	1 61 24 is_stmt 1               ; persistent_matmul.py:61:24
	global_load_b32 v223, v[136:137], off
	.loc	1 61 64 is_stmt 0               ; persistent_matmul.py:61:64
	s_cmp_ge_i32 s29, s69
	.loc	1 61 24                         ; persistent_matmul.py:61:24
	s_cbranch_scc0 .LBB0_63
	s_branch .LBB0_64
.LBB0_136:                              ; %._crit_edge.loopexit
	.loc	1 64 21 is_stmt 1               ; persistent_matmul.py:64:21
	s_add_co_i32 s10, s65, 0x68
	s_branch .LBB0_138
.LBB0_137:
	.loc	1 0 21 is_stmt 0                ; persistent_matmul.py:0:21
	v_mov_b32_e32 v7, 0
	s_mov_b32 s10, ttmp9
	v_mov_b32_e32 v15, 0
	v_mov_b32_e32 v23, 0
	s_delay_alu instid0(VALU_DEP_3)
	v_dual_mov_b32 v31, 0 :: v_dual_mov_b32 v22, v7
	v_dual_mov_b32 v11, 0 :: v_dual_mov_b32 v30, v7
	;; [unrolled: 1-line block ×5, first 2 shown]
	v_mov_b32_e32 v6, v7
	v_mov_b32_e32 v14, v7
	v_dual_mov_b32 v2, v7 :: v_dual_mov_b32 v5, v7
	v_dual_mov_b32 v13, v7 :: v_dual_mov_b32 v4, v7
	;; [unrolled: 1-line block ×8, first 2 shown]
	v_mov_b32_e32 v0, v7
.LBB0_138:                              ; %._crit_edge
	.loc	1 60 24 is_stmt 1               ; persistent_matmul.py:60:24
	s_wait_loadcnt_dscnt 0x0
	s_barrier_signal -1
	.loc	1 62 39                         ; persistent_matmul.py:62:39
	s_and_not1_b32 vcc_lo, exec_lo, s61
	.loc	1 60 24                         ; persistent_matmul.py:60:24
	s_barrier_wait -1
	global_inv scope:SCOPE_SE
	.loc	1 62 39                         ; persistent_matmul.py:62:39
	s_wait_alu depctr_sa_sdst(0)
	s_cbranch_vccnz .LBB0_140
; %bb.139:
	.loc	1 60 24                         ; persistent_matmul.py:60:24
	v_lshl_add_u32 v176, v198, 4, 0
	.loc	1 61 24                         ; persistent_matmul.py:61:24
	v_lshl_add_u32 v64, v182, 4, 0
	.loc	1 60 24                         ; persistent_matmul.py:60:24
	ds_load_b128 v[210:213], v176 offset:16528
	ds_load_b128 v[214:217], v176 offset:16512
	;; [unrolled: 1-line block ×4, first 2 shown]
	.loc	1 61 24                         ; persistent_matmul.py:61:24
	ds_load_b128 v[96:99], v64 offset:20480
	ds_load_b128 v[92:95], v64 offset:20736
	;; [unrolled: 1-line block ×14, first 2 shown]
	.loc	1 60 24                         ; persistent_matmul.py:60:24
	ds_load_b128 v[186:189], v176 offset:16400
	ds_load_b128 v[160:163], v176 offset:16624
	;; [unrolled: 1-line block ×5, first 2 shown]
	.loc	1 61 24                         ; persistent_matmul.py:61:24
	ds_load_b128 v[108:111], v64 offset:21760
	ds_load_b128 v[112:115], v64 offset:21504
	.loc	1 60 24                         ; persistent_matmul.py:60:24
	ds_load_b128 v[64:67], v176 offset:18672
	ds_load_b128 v[84:87], v176 offset:18656
	ds_load_b128 v[190:193], v176 offset:16416
	ds_load_b128 v[152:155], v176 offset:18448
	ds_load_b128 v[156:159], v176 offset:18432
	ds_load_b128 v[168:171], v176 offset:16592
	ds_load_b128 v[172:175], v176 offset:16576
	ds_load_b128 v[202:205], v176 offset:16560
	ds_load_b128 v[206:209], v176 offset:16544
	ds_load_b128 v[222:225], v176 offset:16496
	ds_load_b128 v[226:229], v176 offset:16480
	ds_load_b128 v[116:119], v176 offset:18576
	ds_load_b128 v[124:127], v176 offset:18560
	ds_load_b128 v[128:131], v176 offset:18544
	ds_load_b128 v[132:135], v176 offset:18528
	ds_load_b128 v[136:139], v176 offset:18512
	ds_load_b128 v[140:143], v176 offset:18496
	ds_load_b128 v[144:147], v176 offset:18480
	ds_load_b128 v[148:151], v176 offset:18464
	ds_load_b128 v[104:107], v176 offset:18640
	ds_load_b128 v[120:123], v176 offset:18624
	ds_load_b128 v[72:75], v176 offset:18608
	ds_load_b128 v[100:103], v176 offset:18592
	.loc	1 62 39                         ; persistent_matmul.py:62:39
	s_wait_dscnt 0x2b
	v_fmac_f32_e32 v1, v214, v96
	v_fmac_f32_e32 v24, v182, v97
	;; [unrolled: 1-line block ×5, first 2 shown]
	s_wait_dscnt 0x2a
	v_fmac_f32_e32 v1, v215, v92
	v_fmac_f32_e32 v24, v183, v93
	v_fmac_f32_e32 v9, v215, v95
	v_fmac_f32_e32 v25, v215, v93
	v_dual_fmac_f32 v0, v183, v92 :: v_dual_fmac_f32 v17, v214, v98
	s_wait_dscnt 0x24
	v_fmac_f32_e32 v24, v184, v89
	v_fmac_f32_e32 v1, v216, v88
	;; [unrolled: 1-line block ×3, first 2 shown]
	v_dual_fmac_f32 v0, v184, v88 :: v_dual_fmac_f32 v17, v215, v94
	s_delay_alu instid0(VALU_DEP_4) | instskip(NEXT) | instid1(VALU_DEP_4)
	v_fmac_f32_e32 v24, v185, v81
	v_fmac_f32_e32 v1, v217, v80
	s_delay_alu instid0(VALU_DEP_4) | instskip(NEXT) | instid1(VALU_DEP_4)
	v_fmac_f32_e32 v9, v217, v83
	v_dual_fmac_f32 v0, v185, v80 :: v_dual_fmac_f32 v25, v216, v89
	s_wait_dscnt 0x17
	v_fmac_f32_e32 v24, v186, v113
	v_fmac_f32_e32 v1, v210, v112
	;; [unrolled: 1-line block ×4, first 2 shown]
	v_dual_fmac_f32 v0, v186, v112 :: v_dual_fmac_f32 v17, v216, v90
	v_fmac_f32_e32 v24, v187, v109
	v_fmac_f32_e32 v1, v211, v108
	;; [unrolled: 1-line block ×6, first 2 shown]
	s_delay_alu instid0(VALU_DEP_4) | instskip(NEXT) | instid1(VALU_DEP_3)
	v_dual_fmac_f32 v12, v198, v98 :: v_dual_fmac_f32 v9, v212, v79
	v_dual_fmac_f32 v1, v212, v76 :: v_dual_fmac_f32 v20, v199, v93
	s_delay_alu instid0(VALU_DEP_3) | instskip(SKIP_1) | instid1(VALU_DEP_4)
	v_fmac_f32_e32 v24, v189, v69
	v_dual_fmac_f32 v0, v187, v108 :: v_dual_fmac_f32 v25, v217, v81
	v_dual_fmac_f32 v9, v213, v71 :: v_dual_fmac_f32 v12, v199, v94
	s_wait_dscnt 0x14
	s_delay_alu instid0(VALU_DEP_3) | instskip(NEXT) | instid1(VALU_DEP_3)
	v_dual_fmac_f32 v24, v190, v61 :: v_dual_fmac_f32 v1, v213, v68
	v_dual_fmac_f32 v0, v188, v76 :: v_dual_fmac_f32 v17, v217, v82
	s_wait_dscnt 0xe
	s_delay_alu instid0(VALU_DEP_2) | instskip(NEXT) | instid1(VALU_DEP_3)
	v_dual_fmac_f32 v9, v206, v63 :: v_dual_fmac_f32 v24, v191, v57
	v_dual_fmac_f32 v16, v184, v90 :: v_dual_fmac_f32 v1, v206, v60
	s_delay_alu instid0(VALU_DEP_3) | instskip(NEXT) | instid1(VALU_DEP_3)
	v_dual_fmac_f32 v0, v189, v68 :: v_dual_fmac_f32 v25, v210, v113
	v_dual_fmac_f32 v24, v192, v53 :: v_dual_fmac_f32 v9, v207, v59
	s_delay_alu instid0(VALU_DEP_3) | instskip(NEXT) | instid1(VALU_DEP_3)
	v_dual_fmac_f32 v16, v185, v82 :: v_dual_fmac_f32 v1, v207, v56
	v_dual_fmac_f32 v0, v190, v60 :: v_dual_fmac_f32 v25, v211, v109
	v_fmac_f32_e32 v28, v198, v96
	s_delay_alu instid0(VALU_DEP_4) | instskip(NEXT) | instid1(VALU_DEP_4)
	v_dual_fmac_f32 v24, v193, v49 :: v_dual_fmac_f32 v9, v208, v55
	v_fmac_f32_e32 v1, v208, v52
	v_fmac_f32_e32 v20, v200, v89
	v_dual_fmac_f32 v0, v191, v56 :: v_dual_fmac_f32 v17, v210, v114
	v_dual_fmac_f32 v8, v182, v99 :: v_dual_fmac_f32 v25, v212, v77
	;; [unrolled: 1-line block ×3, first 2 shown]
	v_fmac_f32_e32 v1, v209, v48
	s_delay_alu instid0(VALU_DEP_4) | instskip(NEXT) | instid1(VALU_DEP_4)
	v_dual_fmac_f32 v20, v201, v81 :: v_dual_fmac_f32 v17, v211, v110
	v_fmac_f32_e32 v8, v183, v95
	v_dual_fmac_f32 v0, v192, v52 :: v_dual_fmac_f32 v25, v213, v69
	v_dual_fmac_f32 v24, v219, v41 :: v_dual_fmac_f32 v9, v202, v47
	v_fmac_f32_e32 v1, v202, v44
	v_dual_fmac_f32 v17, v212, v78 :: v_dual_fmac_f32 v28, v199, v92
	s_delay_alu instid0(VALU_DEP_4) | instskip(NEXT) | instid1(VALU_DEP_2)
	v_dual_fmac_f32 v0, v193, v48 :: v_dual_fmac_f32 v25, v206, v61
	v_dual_fmac_f32 v24, v220, v37 :: v_dual_fmac_f32 v17, v213, v70
	v_fmac_f32_e32 v8, v184, v91
	s_delay_alu instid0(VALU_DEP_3) | instskip(NEXT) | instid1(VALU_DEP_3)
	v_dual_fmac_f32 v0, v218, v44 :: v_dual_fmac_f32 v25, v207, v57
	v_dual_fmac_f32 v24, v221, v33 :: v_dual_fmac_f32 v17, v206, v62
	v_fmac_f32_e32 v28, v200, v88
	s_delay_alu instid0(VALU_DEP_3) | instskip(SKIP_1) | instid1(VALU_DEP_4)
	v_dual_fmac_f32 v0, v219, v40 :: v_dual_fmac_f32 v25, v208, v53
	v_fmac_f32_e32 v12, v200, v90
	v_dual_fmac_f32 v17, v207, v58 :: v_dual_fmac_f32 v8, v185, v83
	v_fmac_f32_e32 v1, v203, v40
	s_delay_alu instid0(VALU_DEP_4) | instskip(SKIP_2) | instid1(VALU_DEP_4)
	v_fmac_f32_e32 v25, v209, v49
	v_fmac_f32_e32 v28, v201, v80
	;; [unrolled: 1-line block ×3, first 2 shown]
	v_dual_fmac_f32 v20, v194, v113 :: v_dual_fmac_f32 v1, v204, v36
	v_fmac_f32_e32 v17, v208, v54
	v_dual_fmac_f32 v0, v220, v36 :: v_dual_fmac_f32 v25, v202, v45
	v_fmac_f32_e32 v16, v186, v114
	v_dual_fmac_f32 v28, v194, v112 :: v_dual_fmac_f32 v9, v203, v43
	v_dual_fmac_f32 v20, v195, v109 :: v_dual_fmac_f32 v1, v205, v32
	v_fmac_f32_e32 v17, v209, v50
	v_dual_fmac_f32 v0, v221, v32 :: v_dual_fmac_f32 v25, v203, v41
	s_delay_alu instid0(VALU_DEP_4) | instskip(SKIP_1) | instid1(VALU_DEP_4)
	v_dual_fmac_f32 v16, v187, v110 :: v_dual_fmac_f32 v9, v204, v39
	v_fmac_f32_e32 v12, v194, v114
	v_fmac_f32_e32 v17, v202, v46
	s_delay_alu instid0(VALU_DEP_4) | instskip(SKIP_1) | instid1(VALU_DEP_4)
	v_dual_fmac_f32 v8, v186, v115 :: v_dual_fmac_f32 v25, v204, v37
	v_fmac_f32_e32 v28, v195, v108
	v_dual_fmac_f32 v12, v195, v110 :: v_dual_fmac_f32 v9, v205, v35
	s_delay_alu instid0(VALU_DEP_4) | instskip(NEXT) | instid1(VALU_DEP_4)
	v_fmac_f32_e32 v17, v203, v42
	v_dual_fmac_f32 v8, v187, v111 :: v_dual_fmac_f32 v25, v205, v33
	v_fmac_f32_e32 v29, v172, v96
	v_fmac_f32_e32 v16, v188, v78
	s_delay_alu instid0(VALU_DEP_4) | instskip(NEXT) | instid1(VALU_DEP_4)
	v_fmac_f32_e32 v17, v204, v38
	v_fmac_f32_e32 v8, v188, v79
	;; [unrolled: 1-line block ×11, first 2 shown]
	v_dual_fmac_f32 v28, v197, v68 :: v_dual_fmac_f32 v5, v172, v99
	v_fmac_f32_e32 v12, v196, v78
	v_fmac_f32_e32 v13, v173, v94
	v_dual_fmac_f32 v20, v197, v69 :: v_dual_fmac_f32 v29, v174, v88
	s_delay_alu instid0(VALU_DEP_4) | instskip(NEXT) | instid1(VALU_DEP_4)
	v_dual_fmac_f32 v16, v190, v62 :: v_dual_fmac_f32 v5, v173, v95
	v_dual_fmac_f32 v12, v197, v70 :: v_dual_fmac_f32 v21, v174, v89
	s_delay_alu instid0(VALU_DEP_3) | instskip(NEXT) | instid1(VALU_DEP_3)
	v_dual_fmac_f32 v8, v190, v63 :: v_dual_fmac_f32 v29, v175, v80
	v_fmac_f32_e32 v16, v191, v58
	s_wait_dscnt 0xc
	s_delay_alu instid0(VALU_DEP_3) | instskip(SKIP_3) | instid1(VALU_DEP_4)
	v_fmac_f32_e32 v12, v226, v62
	v_fmac_f32_e32 v13, v174, v90
	v_dual_fmac_f32 v28, v226, v60 :: v_dual_fmac_f32 v21, v175, v81
	v_dual_fmac_f32 v8, v191, v59 :: v_dual_fmac_f32 v29, v168, v112
	v_fmac_f32_e32 v12, v227, v58
	v_dual_fmac_f32 v16, v192, v54 :: v_dual_fmac_f32 v5, v174, v91
	v_fmac_f32_e32 v13, v175, v82
	v_dual_fmac_f32 v28, v227, v56 :: v_dual_fmac_f32 v21, v168, v113
	s_delay_alu instid0(VALU_DEP_3) | instskip(SKIP_1) | instid1(VALU_DEP_4)
	v_dual_fmac_f32 v20, v226, v61 :: v_dual_fmac_f32 v5, v175, v83
	v_fmac_f32_e32 v8, v192, v55
	v_fmac_f32_e32 v13, v168, v114
	s_delay_alu instid0(VALU_DEP_4) | instskip(NEXT) | instid1(VALU_DEP_4)
	v_fmac_f32_e32 v21, v169, v109
	v_fmac_f32_e32 v20, v227, v57
	v_fmac_f32_e32 v28, v228, v52
	v_fmac_f32_e32 v8, v193, v51
	v_dual_fmac_f32 v29, v169, v108 :: v_dual_fmac_f32 v12, v228, v54
	v_dual_fmac_f32 v16, v193, v50 :: v_dual_fmac_f32 v5, v168, v115
	v_fmac_f32_e32 v21, v170, v77
	v_dual_fmac_f32 v20, v228, v53 :: v_dual_fmac_f32 v13, v169, v110
	v_fmac_f32_e32 v28, v229, v48
	s_delay_alu instid0(VALU_DEP_3) | instskip(SKIP_3) | instid1(VALU_DEP_2)
	v_dual_fmac_f32 v16, v218, v46 :: v_dual_fmac_f32 v21, v171, v69
	v_fmac_f32_e32 v5, v169, v111
	v_dual_fmac_f32 v29, v170, v76 :: v_dual_fmac_f32 v12, v229, v50
	v_dual_fmac_f32 v20, v229, v49 :: v_dual_fmac_f32 v13, v170, v78
	;; [unrolled: 1-line block ×3, first 2 shown]
	s_delay_alu instid0(VALU_DEP_3) | instskip(SKIP_2) | instid1(VALU_DEP_4)
	v_dual_fmac_f32 v12, v222, v46 :: v_dual_fmac_f32 v21, v164, v61
	v_fmac_f32_e32 v5, v170, v79
	v_fmac_f32_e32 v28, v222, v44
	v_dual_fmac_f32 v20, v222, v45 :: v_dual_fmac_f32 v29, v164, v60
	v_fmac_f32_e32 v13, v171, v70
	v_fmac_f32_e32 v8, v219, v43
	v_fmac_f32_e32 v5, v171, v71
	v_dual_fmac_f32 v28, v223, v40 :: v_dual_fmac_f32 v21, v165, v57
	v_fmac_f32_e32 v16, v219, v42
	v_dual_fmac_f32 v20, v223, v41 :: v_dual_fmac_f32 v29, v165, v56
	v_fmac_f32_e32 v13, v164, v62
	v_fmac_f32_e32 v8, v220, v39
	v_dual_fmac_f32 v28, v224, v36 :: v_dual_fmac_f32 v21, v166, v53
	v_dual_fmac_f32 v5, v164, v63 :: v_dual_fmac_f32 v12, v223, v42
	v_dual_fmac_f32 v16, v220, v38 :: v_dual_fmac_f32 v29, v166, v52
	v_fmac_f32_e32 v13, v165, v58
	s_delay_alu instid0(VALU_DEP_4) | instskip(SKIP_1) | instid1(VALU_DEP_4)
	v_dual_fmac_f32 v8, v221, v35 :: v_dual_fmac_f32 v21, v167, v49
	v_fmac_f32_e32 v4, v198, v99
	v_dual_fmac_f32 v16, v221, v34 :: v_dual_fmac_f32 v29, v167, v48
	v_dual_fmac_f32 v5, v165, v59 :: v_dual_fmac_f32 v12, v224, v38
	;; [unrolled: 1-line block ×4, first 2 shown]
	v_fmac_f32_e32 v4, v199, v95
	s_delay_alu instid0(VALU_DEP_4) | instskip(SKIP_2) | instid1(VALU_DEP_3)
	v_dual_fmac_f32 v5, v166, v55 :: v_dual_fmac_f32 v12, v225, v34
	v_fmac_f32_e32 v29, v160, v44
	v_dual_fmac_f32 v13, v167, v50 :: v_dual_fmac_f32 v20, v225, v33
	v_fmac_f32_e32 v5, v167, v51
	s_delay_alu instid0(VALU_DEP_3) | instskip(NEXT) | instid1(VALU_DEP_3)
	v_dual_fmac_f32 v4, v200, v91 :: v_dual_fmac_f32 v29, v161, v40
	v_fmac_f32_e32 v13, v160, v46
	v_fmac_f32_e32 v21, v161, v41
	s_delay_alu instid0(VALU_DEP_4) | instskip(NEXT) | instid1(VALU_DEP_4)
	v_fmac_f32_e32 v5, v160, v47
	v_fmac_f32_e32 v4, v201, v83
	s_delay_alu instid0(VALU_DEP_4) | instskip(SKIP_1) | instid1(VALU_DEP_4)
	v_dual_fmac_f32 v2, v156, v96 :: v_dual_fmac_f32 v13, v161, v42
	v_fmac_f32_e32 v29, v162, v36
	v_fmac_f32_e32 v5, v161, v43
	s_delay_alu instid0(VALU_DEP_4) | instskip(NEXT) | instid1(VALU_DEP_4)
	v_fmac_f32_e32 v4, v194, v115
	v_dual_fmac_f32 v2, v157, v92 :: v_dual_fmac_f32 v21, v162, v37
	s_delay_alu instid0(VALU_DEP_4) | instskip(NEXT) | instid1(VALU_DEP_4)
	v_fmac_f32_e32 v29, v163, v32
	v_fmac_f32_e32 v5, v162, v39
	s_delay_alu instid0(VALU_DEP_4) | instskip(NEXT) | instid1(VALU_DEP_4)
	v_fmac_f32_e32 v4, v195, v111
	v_fmac_f32_e32 v2, v158, v88
	;; [unrolled: 1-line block ×6, first 2 shown]
	s_wait_dscnt 0xa
	v_fmac_f32_e32 v3, v124, v96
	v_fmac_f32_e32 v13, v163, v34
	v_dual_fmac_f32 v27, v124, v97 :: v_dual_fmac_f32 v2, v159, v80
	v_fmac_f32_e32 v4, v197, v71
	s_delay_alu instid0(VALU_DEP_4) | instskip(NEXT) | instid1(VALU_DEP_3)
	v_dual_fmac_f32 v3, v125, v92 :: v_dual_fmac_f32 v26, v156, v97
	v_fmac_f32_e32 v27, v125, v93
	s_delay_alu instid0(VALU_DEP_3) | instskip(SKIP_1) | instid1(VALU_DEP_4)
	v_dual_fmac_f32 v19, v124, v98 :: v_dual_fmac_f32 v4, v226, v63
	v_fmac_f32_e32 v2, v152, v112
	v_dual_fmac_f32 v3, v126, v88 :: v_dual_fmac_f32 v18, v156, v98
	s_delay_alu instid0(VALU_DEP_3) | instskip(NEXT) | instid1(VALU_DEP_3)
	v_dual_fmac_f32 v19, v125, v94 :: v_dual_fmac_f32 v4, v227, v59
	v_dual_fmac_f32 v2, v153, v108 :: v_dual_fmac_f32 v27, v126, v89
	s_delay_alu instid0(VALU_DEP_3) | instskip(NEXT) | instid1(VALU_DEP_3)
	v_dual_fmac_f32 v3, v127, v80 :: v_dual_fmac_f32 v26, v157, v93
	v_fmac_f32_e32 v4, v228, v55
	s_delay_alu instid0(VALU_DEP_3) | instskip(NEXT) | instid1(VALU_DEP_3)
	v_dual_fmac_f32 v2, v154, v76 :: v_dual_fmac_f32 v27, v127, v81
	v_fmac_f32_e32 v3, v116, v112
	v_fmac_f32_e32 v10, v156, v99
	s_delay_alu instid0(VALU_DEP_4) | instskip(NEXT) | instid1(VALU_DEP_4)
	v_fmac_f32_e32 v4, v229, v51
	v_dual_fmac_f32 v2, v155, v68 :: v_dual_fmac_f32 v19, v126, v90
	s_wait_dscnt 0x6
	v_dual_fmac_f32 v3, v117, v108 :: v_dual_fmac_f32 v22, v140, v97
	s_delay_alu instid0(VALU_DEP_3) | instskip(SKIP_2) | instid1(VALU_DEP_3)
	v_fmac_f32_e32 v4, v222, v47
	s_wait_dscnt 0x4
	v_dual_fmac_f32 v2, v148, v60 :: v_dual_fmac_f32 v19, v127, v82
	v_dual_fmac_f32 v3, v118, v76 :: v_dual_fmac_f32 v18, v157, v94
	s_delay_alu instid0(VALU_DEP_3) | instskip(NEXT) | instid1(VALU_DEP_3)
	v_fmac_f32_e32 v4, v223, v43
	v_dual_fmac_f32 v2, v149, v56 :: v_dual_fmac_f32 v27, v116, v113
	s_delay_alu instid0(VALU_DEP_3) | instskip(NEXT) | instid1(VALU_DEP_3)
	v_dual_fmac_f32 v3, v119, v68 :: v_dual_fmac_f32 v22, v141, v93
	v_fmac_f32_e32 v4, v224, v39
	s_delay_alu instid0(VALU_DEP_3) | instskip(SKIP_1) | instid1(VALU_DEP_3)
	v_dual_fmac_f32 v2, v150, v52 :: v_dual_fmac_f32 v19, v116, v114
	s_wait_dscnt 0x0
	v_dual_fmac_f32 v3, v100, v60 :: v_dual_fmac_f32 v18, v158, v90
	s_delay_alu instid0(VALU_DEP_3) | instskip(NEXT) | instid1(VALU_DEP_3)
	v_fmac_f32_e32 v4, v225, v35
	v_dual_fmac_f32 v2, v151, v48 :: v_dual_fmac_f32 v27, v117, v109
	v_fmac_f32_e32 v30, v140, v96
	s_delay_alu instid0(VALU_DEP_4) | instskip(NEXT) | instid1(VALU_DEP_3)
	v_fmac_f32_e32 v3, v101, v56
	v_dual_fmac_f32 v19, v117, v110 :: v_dual_fmac_f32 v2, v144, v44
	s_delay_alu instid0(VALU_DEP_4) | instskip(SKIP_1) | instid1(VALU_DEP_4)
	v_fmac_f32_e32 v27, v118, v77
	v_fmac_f32_e32 v31, v120, v96
	;; [unrolled: 1-line block ×3, first 2 shown]
	s_delay_alu instid0(VALU_DEP_4) | instskip(NEXT) | instid1(VALU_DEP_4)
	v_dual_fmac_f32 v19, v118, v78 :: v_dual_fmac_f32 v2, v145, v40
	v_dual_fmac_f32 v27, v119, v69 :: v_dual_fmac_f32 v10, v157, v95
	s_delay_alu instid0(VALU_DEP_2) | instskip(NEXT) | instid1(VALU_DEP_2)
	v_dual_fmac_f32 v30, v141, v92 :: v_dual_fmac_f32 v19, v119, v70
	v_dual_fmac_f32 v2, v146, v36 :: v_dual_fmac_f32 v27, v100, v61
	v_fmac_f32_e32 v26, v158, v89
	s_delay_alu instid0(VALU_DEP_3) | instskip(NEXT) | instid1(VALU_DEP_3)
	v_dual_fmac_f32 v10, v158, v91 :: v_dual_fmac_f32 v19, v100, v62
	v_dual_fmac_f32 v2, v147, v32 :: v_dual_fmac_f32 v27, v101, v57
	v_fmac_f32_e32 v30, v142, v88
	s_delay_alu instid0(VALU_DEP_4) | instskip(SKIP_4) | instid1(VALU_DEP_3)
	v_fmac_f32_e32 v26, v159, v81
	v_fmac_f32_e32 v18, v159, v82
	;; [unrolled: 1-line block ×4, first 2 shown]
	v_dual_fmac_f32 v22, v142, v89 :: v_dual_fmac_f32 v3, v103, v48
	v_dual_fmac_f32 v10, v159, v83 :: v_dual_fmac_f32 v19, v102, v54
	s_delay_alu instid0(VALU_DEP_3) | instskip(SKIP_1) | instid1(VALU_DEP_4)
	v_dual_fmac_f32 v18, v152, v114 :: v_dual_fmac_f32 v27, v103, v49
	v_fmac_f32_e32 v30, v143, v80
	v_dual_fmac_f32 v22, v143, v81 :: v_dual_fmac_f32 v3, v72, v44
	s_delay_alu instid0(VALU_DEP_4) | instskip(SKIP_3) | instid1(VALU_DEP_4)
	v_dual_fmac_f32 v26, v152, v113 :: v_dual_fmac_f32 v19, v103, v50
	v_fmac_f32_e32 v10, v152, v115
	v_fmac_f32_e32 v27, v72, v45
	v_fmac_f32_e32 v30, v136, v112
	v_dual_fmac_f32 v26, v153, v109 :: v_dual_fmac_f32 v19, v72, v46
	v_fmac_f32_e32 v3, v73, v40
	v_fmac_f32_e32 v18, v153, v110
	v_fmac_f32_e32 v27, v73, v41
	v_fmac_f32_e32 v10, v153, v111
	v_dual_fmac_f32 v22, v136, v113 :: v_dual_fmac_f32 v19, v73, v42
	v_fmac_f32_e32 v30, v137, v108
	;; [unrolled: 5-line block ×3, first 2 shown]
	s_delay_alu instid0(VALU_DEP_4) | instskip(NEXT) | instid1(VALU_DEP_4)
	v_fmac_f32_e32 v27, v75, v33
	v_fmac_f32_e32 v18, v155, v70
	s_delay_alu instid0(VALU_DEP_4)
	v_fmac_f32_e32 v10, v155, v71
	v_dual_fmac_f32 v22, v137, v109 :: v_dual_fmac_f32 v3, v75, v32
	v_fmac_f32_e32 v19, v74, v38
	v_dual_fmac_f32 v30, v138, v76 :: v_dual_fmac_f32 v11, v124, v99
	;; [unrolled: 2-line block ×3, first 2 shown]
	v_dual_fmac_f32 v10, v148, v63 :: v_dual_fmac_f32 v31, v122, v88
	v_dual_fmac_f32 v22, v138, v77 :: v_dual_fmac_f32 v15, v120, v98
	;; [unrolled: 1-line block ×3, first 2 shown]
	s_delay_alu instid0(VALU_DEP_4) | instskip(NEXT) | instid1(VALU_DEP_4)
	v_dual_fmac_f32 v18, v149, v58 :: v_dual_fmac_f32 v23, v122, v89
	v_dual_fmac_f32 v10, v149, v59 :: v_dual_fmac_f32 v31, v123, v80
	v_fmac_f32_e32 v19, v75, v34
	v_dual_fmac_f32 v26, v155, v69 :: v_dual_fmac_f32 v7, v120, v99
	v_dual_fmac_f32 v22, v139, v69 :: v_dual_fmac_f32 v15, v121, v94
	;; [unrolled: 1-line block ×3, first 2 shown]
	s_delay_alu instid0(VALU_DEP_3)
	v_dual_fmac_f32 v26, v148, v61 :: v_dual_fmac_f32 v7, v121, v95
	v_dual_fmac_f32 v18, v150, v54 :: v_dual_fmac_f32 v23, v123, v81
	v_dual_fmac_f32 v10, v150, v55 :: v_dual_fmac_f32 v31, v104, v112
	v_dual_fmac_f32 v22, v132, v61 :: v_dual_fmac_f32 v15, v122, v90
	v_dual_fmac_f32 v30, v133, v56 :: v_dual_fmac_f32 v11, v127, v83
	v_dual_fmac_f32 v26, v149, v57 :: v_dual_fmac_f32 v7, v122, v91
	v_dual_fmac_f32 v18, v151, v50 :: v_dual_fmac_f32 v23, v104, v113
	v_dual_fmac_f32 v10, v151, v51 :: v_dual_fmac_f32 v31, v105, v108
	v_dual_fmac_f32 v22, v133, v57 :: v_dual_fmac_f32 v15, v123, v82
	v_dual_fmac_f32 v30, v134, v52 :: v_dual_fmac_f32 v11, v116, v115
	v_dual_fmac_f32 v26, v150, v53 :: v_dual_fmac_f32 v7, v123, v83
	v_dual_fmac_f32 v18, v144, v46 :: v_dual_fmac_f32 v23, v105, v109
	v_dual_fmac_f32 v10, v144, v47 :: v_dual_fmac_f32 v31, v106, v76
	v_dual_fmac_f32 v22, v134, v53 :: v_dual_fmac_f32 v15, v104, v114
	v_dual_fmac_f32 v30, v135, v48 :: v_dual_fmac_f32 v11, v117, v111
	v_dual_fmac_f32 v26, v151, v49 :: v_dual_fmac_f32 v7, v104, v115
	v_dual_fmac_f32 v18, v145, v42 :: v_dual_fmac_f32 v23, v106, v77
	v_dual_fmac_f32 v10, v145, v43 :: v_dual_fmac_f32 v31, v107, v68
	v_dual_fmac_f32 v22, v135, v49 :: v_dual_fmac_f32 v15, v105, v110
	v_dual_fmac_f32 v30, v128, v44 :: v_dual_fmac_f32 v11, v118, v79
	v_dual_fmac_f32 v26, v144, v45 :: v_dual_fmac_f32 v7, v105, v111
	v_dual_fmac_f32 v18, v146, v38 :: v_dual_fmac_f32 v23, v107, v69
	v_dual_fmac_f32 v10, v146, v39 :: v_dual_fmac_f32 v31, v84, v60
	v_dual_fmac_f32 v22, v128, v45 :: v_dual_fmac_f32 v15, v106, v78
	v_dual_fmac_f32 v30, v129, v40 :: v_dual_fmac_f32 v11, v119, v71
	v_dual_fmac_f32 v26, v145, v41 :: v_dual_fmac_f32 v7, v106, v79
	v_dual_fmac_f32 v18, v147, v34 :: v_dual_fmac_f32 v23, v84, v61
	s_delay_alu instid0(VALU_DEP_3) | instskip(SKIP_1) | instid1(VALU_DEP_3)
	v_dual_fmac_f32 v30, v130, v36 :: v_dual_fmac_f32 v11, v100, v63
	v_dual_fmac_f32 v10, v147, v35 :: v_dual_fmac_f32 v31, v85, v56
	;; [unrolled: 1-line block ×3, first 2 shown]
	v_fmac_f32_e32 v6, v140, v99
	v_dual_fmac_f32 v22, v129, v41 :: v_dual_fmac_f32 v15, v107, v70
	v_dual_fmac_f32 v26, v146, v37 :: v_dual_fmac_f32 v7, v107, v71
	;; [unrolled: 1-line block ×7, first 2 shown]
	s_delay_alu instid0(VALU_DEP_3) | instskip(SKIP_1) | instid1(VALU_DEP_3)
	v_dual_fmac_f32 v6, v142, v91 :: v_dual_fmac_f32 v31, v87, v48
	v_fmac_f32_e32 v11, v102, v55
	v_dual_fmac_f32 v14, v142, v90 :: v_dual_fmac_f32 v7, v85, v59
	v_dual_fmac_f32 v22, v131, v33 :: v_dual_fmac_f32 v15, v85, v58
	s_delay_alu instid0(VALU_DEP_4) | instskip(NEXT) | instid1(VALU_DEP_3)
	v_fmac_f32_e32 v6, v143, v83
	v_dual_fmac_f32 v14, v143, v82 :: v_dual_fmac_f32 v7, v86, v55
	v_fmac_f32_e32 v11, v103, v51
	s_delay_alu instid0(VALU_DEP_3) | instskip(NEXT) | instid1(VALU_DEP_3)
	v_dual_fmac_f32 v15, v86, v54 :: v_dual_fmac_f32 v6, v136, v115
	v_dual_fmac_f32 v23, v87, v49 :: v_dual_fmac_f32 v14, v136, v114
	s_delay_alu instid0(VALU_DEP_4) | instskip(NEXT) | instid1(VALU_DEP_3)
	v_fmac_f32_e32 v7, v87, v51
	v_dual_fmac_f32 v15, v87, v50 :: v_dual_fmac_f32 v6, v137, v111
	s_delay_alu instid0(VALU_DEP_3) | instskip(SKIP_1) | instid1(VALU_DEP_3)
	v_dual_fmac_f32 v11, v72, v47 :: v_dual_fmac_f32 v14, v137, v110
	v_fmac_f32_e32 v31, v64, v44
	v_dual_fmac_f32 v23, v64, v45 :: v_dual_fmac_f32 v6, v138, v79
	s_delay_alu instid0(VALU_DEP_4) | instskip(NEXT) | instid1(VALU_DEP_4)
	v_fmac_f32_e32 v15, v64, v46
	v_dual_fmac_f32 v14, v138, v78 :: v_dual_fmac_f32 v11, v73, v43
	s_delay_alu instid0(VALU_DEP_3) | instskip(NEXT) | instid1(VALU_DEP_2)
	v_dual_fmac_f32 v31, v65, v40 :: v_dual_fmac_f32 v6, v139, v71
	v_dual_fmac_f32 v7, v64, v47 :: v_dual_fmac_f32 v14, v139, v70
	v_fmac_f32_e32 v23, v65, v41
	s_delay_alu instid0(VALU_DEP_3) | instskip(SKIP_1) | instid1(VALU_DEP_4)
	v_dual_fmac_f32 v31, v66, v36 :: v_dual_fmac_f32 v6, v132, v63
	v_fmac_f32_e32 v15, v65, v42
	v_dual_fmac_f32 v14, v132, v62 :: v_dual_fmac_f32 v7, v65, v43
	s_delay_alu instid0(VALU_DEP_3) | instskip(NEXT) | instid1(VALU_DEP_2)
	v_dual_fmac_f32 v23, v66, v37 :: v_dual_fmac_f32 v6, v133, v59
	v_dual_fmac_f32 v11, v74, v39 :: v_dual_fmac_f32 v14, v133, v58
	s_delay_alu instid0(VALU_DEP_4) | instskip(NEXT) | instid1(VALU_DEP_3)
	v_fmac_f32_e32 v15, v66, v38
	v_dual_fmac_f32 v31, v67, v32 :: v_dual_fmac_f32 v6, v134, v55
	v_fmac_f32_e32 v7, v66, v39
	s_delay_alu instid0(VALU_DEP_4) | instskip(NEXT) | instid1(VALU_DEP_4)
	v_dual_fmac_f32 v14, v134, v54 :: v_dual_fmac_f32 v23, v67, v33
	v_fmac_f32_e32 v15, v67, v34
	s_delay_alu instid0(VALU_DEP_4) | instskip(SKIP_1) | instid1(VALU_DEP_4)
	v_fmac_f32_e32 v6, v135, v51
	v_fmac_f32_e32 v11, v75, v35
	;; [unrolled: 1-line block ×4, first 2 shown]
	s_delay_alu instid0(VALU_DEP_4) | instskip(NEXT) | instid1(VALU_DEP_3)
	v_fmac_f32_e32 v6, v128, v47
	v_fmac_f32_e32 v14, v128, v46
	s_delay_alu instid0(VALU_DEP_2) | instskip(NEXT) | instid1(VALU_DEP_2)
	v_fmac_f32_e32 v6, v129, v43
	v_fmac_f32_e32 v14, v129, v42
	s_delay_alu instid0(VALU_DEP_2) | instskip(NEXT) | instid1(VALU_DEP_2)
	;; [unrolled: 3-line block ×3, first 2 shown]
	v_fmac_f32_e32 v6, v131, v35
	v_fmac_f32_e32 v14, v131, v34
.LBB0_140:
	.loc	1 43 59                         ; persistent_matmul.py:43:59
	s_cmp_lg_u32 s19, s17
	s_cselect_b32 s0, -1, 0
	s_wait_alu depctr_sa_sdst(0)
	s_or_b32 s0, s16, s0
	s_wait_alu depctr_sa_sdst(0)
	s_and_b32 vcc_lo, exec_lo, s0
	s_wait_alu depctr_sa_sdst(0)
	s_cbranch_vccnz .LBB0_206
; %bb.141:
.Ltmp52:
	.loc	1 10 26                         ; persistent_matmul.py:10:26 @[ persistent_matmul.py:65:90 ]
	s_abs_i32 s0, s10
	s_mov_b32 s1, 0
.Ltmp53:
	.loc	1 74 25                         ; persistent_matmul.py:74:25
	v_lshlrev_b32_e32 v34, 5, v179
.Ltmp54:
	.loc	1 10 26                         ; persistent_matmul.py:10:26 @[ persistent_matmul.py:65:90 ]
	s_wait_alu depctr_sa_sdst(0)
	s_mul_u64 s[8:9], s[0:1], s[8:9]
	s_ashr_i32 s1, s10, 31
	s_wait_alu depctr_sa_sdst(0)
	s_mul_i32 s8, s9, s59
	s_xor_b32 s11, s1, s60
	s_wait_alu depctr_sa_sdst(0)
	s_sub_co_i32 s8, s0, s8
	s_add_co_i32 s12, s9, 1
	s_wait_alu depctr_sa_sdst(0)
	s_sub_co_i32 s13, s8, s59
	s_cmp_ge_u32 s8, s59
.Ltmp55:
	.loc	1 74 25                         ; persistent_matmul.py:74:25
	v_lshlrev_b32_e32 v33, 12, v179
.Ltmp56:
	.loc	1 10 26                         ; persistent_matmul.py:10:26 @[ persistent_matmul.py:65:90 ]
	s_cselect_b32 s9, s12, s9
	s_wait_alu depctr_sa_sdst(0)
	s_cselect_b32 s8, s13, s8
	s_add_co_i32 s12, s9, 1
	s_wait_alu depctr_sa_sdst(0)
	s_cmp_ge_u32 s8, s59
	s_cselect_b32 s8, s12, s9
	s_wait_alu depctr_sa_sdst(0)
	s_xor_b32 s8, s8, s11
	s_wait_alu depctr_sa_sdst(0)
	s_sub_co_i32 s8, s8, s11
	.loc	1 11 29                         ; persistent_matmul.py:11:29 @[ persistent_matmul.py:65:90 ]
	s_wait_alu depctr_sa_sdst(0)
	s_lshl_b32 s9, s8, 3
	.loc	1 14 23                         ; persistent_matmul.py:14:23 @[ persistent_matmul.py:65:90 ]
	s_mul_i32 s8, s8, s38
	.loc	1 12 35                         ; persistent_matmul.py:12:35 @[ persistent_matmul.py:65:90 ]
	s_wait_alu depctr_sa_sdst(0)
	s_sub_co_i32 s11, s36, s9
	.loc	1 12 48 is_stmt 0               ; persistent_matmul.py:12:48 @[ persistent_matmul.py:65:90 ]
	s_wait_alu depctr_sa_sdst(0)
	s_min_i32 s11, s11, 8
	.loc	1 13 37 is_stmt 1               ; persistent_matmul.py:13:37 @[ persistent_matmul.py:65:90 ]
	s_wait_alu depctr_sa_sdst(0)
	s_abs_i32 s12, s11
	s_wait_alu depctr_sa_sdst(0)
	s_cvt_f32_u32 s13, s12
	s_sub_co_i32 s14, 0, s12
	s_wait_alu depctr_sa_sdst(0)
	s_delay_alu instid0(SALU_CYCLE_1) | instskip(NEXT) | instid1(TRANS32_DEP_1)
	v_rcp_iflag_f32_e32 v32, s13
	v_readfirstlane_b32 s13, v32
.Ltmp57:
	.loc	1 74 25                         ; persistent_matmul.py:74:25
	v_and_b32_e32 v32, 0x800, v181
.Ltmp58:
	.loc	1 13 37                         ; persistent_matmul.py:13:37 @[ persistent_matmul.py:65:90 ]
	s_mul_f32 s13, s13, 0x4f7ffffe
	s_delay_alu instid0(VALU_DEP_1) | instskip(SKIP_1) | instid1(SALU_CYCLE_1)
.Ltmp59:
	.loc	1 74 25                         ; persistent_matmul.py:74:25
	v_and_or_b32 v32, 0x770, v180, v32
.Ltmp60:
	.loc	1 13 37                         ; persistent_matmul.py:13:37 @[ persistent_matmul.py:65:90 ]
	s_wait_alu depctr_sa_sdst(0)
	s_cvt_u32_f32 s13, s13
	s_delay_alu instid0(VALU_DEP_1)
.Ltmp61:
	.loc	1 74 25                         ; persistent_matmul.py:74:25
	v_add_nc_u32_e32 v35, 0, v32
	v_xad_u32 v36, v32, 32, 0
.Ltmp62:
	.loc	1 13 37                         ; persistent_matmul.py:13:37 @[ persistent_matmul.py:65:90 ]
	s_wait_alu depctr_sa_sdst(0)
	s_mul_i32 s14, s14, s13
.Ltmp63:
	.loc	1 74 25                         ; persistent_matmul.py:74:25
	v_xad_u32 v37, v32, 64, 0
.Ltmp64:
	.loc	1 13 37                         ; persistent_matmul.py:13:37 @[ persistent_matmul.py:65:90 ]
	s_wait_alu depctr_sa_sdst(0)
	s_mul_hi_u32 s14, s13, s14
.Ltmp65:
	.loc	1 74 25                         ; persistent_matmul.py:74:25
	v_xad_u32 v32, 0x60, v32, 0
.Ltmp66:
	.loc	1 13 37                         ; persistent_matmul.py:13:37 @[ persistent_matmul.py:65:90 ]
	s_wait_alu depctr_sa_sdst(0)
	s_add_co_i32 s13, s13, s14
.Ltmp67:
	.loc	1 74 25                         ; persistent_matmul.py:74:25
	ds_store_b128 v35, v[0:3]
	ds_store_b128 v35, v[28:31] offset:128
.Ltmp68:
	.loc	1 13 37                         ; persistent_matmul.py:13:37 @[ persistent_matmul.py:65:90 ]
	s_wait_alu depctr_sa_sdst(0)
	s_mul_hi_u32 s14, s0, s13
.Ltmp69:
	.loc	1 74 25                         ; persistent_matmul.py:74:25
	ds_store_b128 v36, v[24:27] offset:4096
	ds_store_b128 v36, v[20:23] offset:4224
.Ltmp70:
	.loc	1 13 37                         ; persistent_matmul.py:13:37 @[ persistent_matmul.py:65:90 ]
	s_wait_alu depctr_sa_sdst(0)
	s_mul_i32 s14, s14, s12
.Ltmp71:
	.loc	1 74 25                         ; persistent_matmul.py:74:25
	ds_store_b128 v37, v[16:19] offset:8192
	ds_store_b128 v37, v[12:15] offset:8320
.Ltmp72:
	.loc	1 13 37                         ; persistent_matmul.py:13:37 @[ persistent_matmul.py:65:90 ]
	s_wait_alu depctr_sa_sdst(0)
	s_sub_co_i32 s0, s0, s14
.Ltmp73:
	.loc	1 74 25                         ; persistent_matmul.py:74:25
	ds_store_b128 v32, v[8:11] offset:12288
	ds_store_b128 v32, v[4:7] offset:12416
.Ltmp74:
	.loc	1 13 37                         ; persistent_matmul.py:13:37 @[ persistent_matmul.py:65:90 ]
	s_wait_alu depctr_sa_sdst(0)
	s_sub_co_i32 s14, s0, s12
	s_cmp_ge_u32 s0, s12
	s_wait_loadcnt_dscnt 0x0
	s_wait_alu depctr_sa_sdst(0)
	s_cselect_b32 s0, s14, s0
.Ltmp75:
	.loc	1 74 25                         ; persistent_matmul.py:74:25
	s_barrier_signal -1
.Ltmp76:
	.loc	1 13 37                         ; persistent_matmul.py:13:37 @[ persistent_matmul.py:65:90 ]
	s_wait_alu depctr_sa_sdst(0)
	s_sub_co_i32 s14, s0, s12
	s_cmp_ge_u32 s0, s12
.Ltmp77:
	.loc	1 74 25                         ; persistent_matmul.py:74:25
	v_and_b32_e32 v0, 0x70, v178
.Ltmp78:
	.loc	1 13 37                         ; persistent_matmul.py:13:37 @[ persistent_matmul.py:65:90 ]
	s_wait_alu depctr_sa_sdst(0)
	s_cselect_b32 s0, s14, s0
	.loc	1 14 23                         ; persistent_matmul.py:14:23 @[ persistent_matmul.py:65:90 ]
	s_sub_co_i32 s8, s10, s8
	.loc	1 13 37                         ; persistent_matmul.py:13:37 @[ persistent_matmul.py:65:90 ]
	s_wait_alu depctr_sa_sdst(0)
	s_xor_b32 s0, s0, s1
	.loc	1 14 44                         ; persistent_matmul.py:14:44 @[ persistent_matmul.py:65:90 ]
	s_xor_b32 s10, s8, s11
	s_abs_i32 s8, s8
	.loc	1 13 37                         ; persistent_matmul.py:13:37 @[ persistent_matmul.py:65:90 ]
	s_wait_alu depctr_sa_sdst(0)
	s_sub_co_i32 s0, s0, s1
	.loc	1 14 44                         ; persistent_matmul.py:14:44 @[ persistent_matmul.py:65:90 ]
	s_mul_hi_u32 s1, s8, s13
	.loc	1 13 27                         ; persistent_matmul.py:13:27 @[ persistent_matmul.py:65:90 ]
	s_wait_alu depctr_sa_sdst(0)
	s_add_co_i32 s9, s9, s0
	.loc	1 14 44                         ; persistent_matmul.py:14:44 @[ persistent_matmul.py:65:90 ]
	s_mul_i32 s11, s1, s12
	s_ashr_i32 s10, s10, 31
	s_wait_alu depctr_sa_sdst(0)
	s_sub_co_i32 s0, s8, s11
	s_add_co_i32 s8, s1, 1
	s_wait_alu depctr_sa_sdst(0)
	s_sub_co_i32 s11, s0, s12
	s_cmp_ge_u32 s0, s12
.Ltmp79:
	.loc	1 74 25                         ; persistent_matmul.py:74:25
	v_xor_b32_e32 v0, v34, v0
.Ltmp80:
	.loc	1 14 44                         ; persistent_matmul.py:14:44 @[ persistent_matmul.py:65:90 ]
	s_cselect_b32 s1, s8, s1
	s_wait_alu depctr_sa_sdst(0)
	s_cselect_b32 s0, s11, s0
	s_add_co_i32 s8, s1, 1
	s_wait_alu depctr_sa_sdst(0)
	s_cmp_ge_u32 s0, s12
.Ltmp81:
	.loc	1 74 25                         ; persistent_matmul.py:74:25
	s_barrier_wait -1
.Ltmp82:
	.loc	1 14 44                         ; persistent_matmul.py:14:44 @[ persistent_matmul.py:65:90 ]
	s_cselect_b32 s0, s8, s1
.Ltmp83:
	.loc	1 66 26                         ; persistent_matmul.py:66:26
	s_lshl_b32 s1, s9, 6
.Ltmp84:
	.loc	1 14 44                         ; persistent_matmul.py:14:44 @[ persistent_matmul.py:65:90 ]
	s_wait_alu depctr_sa_sdst(0)
	s_xor_b32 s8, s0, s10
.Ltmp85:
	.loc	1 66 41                         ; persistent_matmul.py:66:41
	s_or_b32 s0, s1, s22
.Ltmp86:
	.loc	1 14 44                         ; persistent_matmul.py:14:44 @[ persistent_matmul.py:65:90 ]
	s_wait_alu depctr_sa_sdst(0)
	s_sub_co_i32 s8, s8, s10
.Ltmp87:
	.loc	1 69 37                         ; persistent_matmul.py:69:37
	s_cmp_lt_i32 s0, s6
	.loc	1 74 25                         ; persistent_matmul.py:74:25
	global_inv scope:SCOPE_SE
	.loc	1 69 37                         ; persistent_matmul.py:69:37
	s_cselect_b32 s9, -1, 0
	.loc	1 74 25                         ; persistent_matmul.py:74:25
	s_lshl_b32 s10, s58, 11
	s_lshl_b32 s11, s18, 6
	s_wait_alu depctr_sa_sdst(0)
	s_and_b32 s10, s10, 0x800
	s_wait_alu depctr_sa_sdst(0)
	s_or_b32 s10, s11, s10
	s_wait_alu depctr_sa_sdst(0)
	s_add_co_i32 s10, s10, 0
	s_wait_alu depctr_sa_sdst(0)
	v_add3_u32 v0, s10, v33, v0
	ds_load_b128 v[28:31], v0
	ds_load_b128 v[24:27], v0 offset:256
	ds_load_b128 v[20:23], v0 offset:512
	ds_load_b128 v[16:19], v0 offset:768
	ds_load_b128 v[12:15], v0 offset:1024
	ds_load_b128 v[8:11], v0 offset:1280
	ds_load_b128 v[4:7], v0 offset:1536
	ds_load_b128 v[0:3], v0 offset:1792
	.loc	1 67 41                         ; persistent_matmul.py:67:41
	v_lshl_or_b32 v33, s8, 6, v177
	s_delay_alu instid0(VALU_DEP_1) | instskip(SKIP_2) | instid1(VALU_DEP_2)
	.loc	1 68 68                         ; persistent_matmul.py:68:68
	v_mul_lo_u32 v32, v33, s3
	.loc	1 69 62                         ; persistent_matmul.py:69:62
	v_cmp_gt_i32_e32 vcc_lo, s7, v33
	.loc	1 69 43 is_stmt 0               ; persistent_matmul.py:69:43
	s_and_b32 s9, s9, vcc_lo
	.loc	1 68 56 is_stmt 1               ; persistent_matmul.py:68:56
	v_ashrrev_i32_e32 v33, 31, v32
	.loc	1 74 25                         ; persistent_matmul.py:74:25
	s_wait_alu depctr_sa_sdst(0)
	s_and_saveexec_b32 s8, s9
	s_cbranch_execz .LBB0_143
; %bb.142:
	.loc	1 0 25 is_stmt 0                ; persistent_matmul.py:0:25
	s_mul_i32 s10, s0, s2
	v_lshlrev_b64_e32 v[34:35], 2, v[32:33]
	s_wait_alu depctr_sa_sdst(0)
	s_ashr_i32 s11, s10, 31
	s_wait_alu depctr_sa_sdst(0)
	s_lshl_b64 s[10:11], s[10:11], 2
	s_wait_alu depctr_sa_sdst(0)
	s_add_nc_u64 s[10:11], s[4:5], s[10:11]
	s_wait_alu depctr_sa_sdst(0)
	v_add_co_u32 v34, s0, s10, v34
	s_wait_alu depctr_va_sdst(0)
	v_add_co_ci_u32_e64 v35, null, s11, v35, s0
	.loc	1 74 25                         ; persistent_matmul.py:74:25
	s_wait_dscnt 0x7
	global_store_b32 v[34:35], v28, off
.LBB0_143:
	.loc	1 0 25                          ; persistent_matmul.py:0:25
	s_wait_alu depctr_sa_sdst(0)
	s_or_b32 exec_lo, exec_lo, s8
	.loc	1 66 41 is_stmt 1               ; persistent_matmul.py:66:41
	s_or_b32 s0, s1, s23
	.loc	1 69 37                         ; persistent_matmul.py:69:37
	s_wait_alu depctr_sa_sdst(0)
	s_cmp_lt_i32 s0, s6
	s_cselect_b32 s8, -1, 0
	.loc	1 69 43 is_stmt 0               ; persistent_matmul.py:69:43
	s_wait_alu depctr_sa_sdst(0)
	s_and_b32 s9, s8, vcc_lo
	.loc	1 74 25 is_stmt 1               ; persistent_matmul.py:74:25
	s_wait_alu depctr_sa_sdst(0)
	s_and_saveexec_b32 s8, s9
	s_cbranch_execz .LBB0_145
; %bb.144:
	.loc	1 68 37                         ; persistent_matmul.py:68:37
	s_mul_i32 s10, s0, s2
	.loc	1 68 56 is_stmt 0               ; persistent_matmul.py:68:56
	v_lshlrev_b64_e32 v[34:35], 2, v[32:33]
	.loc	1 68 25                         ; persistent_matmul.py:68:25
	s_wait_alu depctr_sa_sdst(0)
	s_ashr_i32 s11, s10, 31
	s_wait_alu depctr_sa_sdst(0)
	s_lshl_b64 s[10:11], s[10:11], 2
	s_wait_alu depctr_sa_sdst(0)
	s_add_nc_u64 s[10:11], s[4:5], s[10:11]
	.loc	1 68 56                         ; persistent_matmul.py:68:56
	s_wait_alu depctr_sa_sdst(0)
	v_add_co_u32 v34, s0, s10, v34
	s_wait_alu depctr_va_sdst(0)
	v_add_co_ci_u32_e64 v35, null, s11, v35, s0
	.loc	1 74 25 is_stmt 1               ; persistent_matmul.py:74:25
	s_wait_dscnt 0x7
	global_store_b32 v[34:35], v29, off
.LBB0_145:
	.loc	1 0 25 is_stmt 0                ; persistent_matmul.py:0:25
	s_wait_alu depctr_sa_sdst(0)
	s_or_b32 exec_lo, exec_lo, s8
	.loc	1 66 41 is_stmt 1               ; persistent_matmul.py:66:41
	s_or_b32 s0, s1, s24
	.loc	1 69 37                         ; persistent_matmul.py:69:37
	s_wait_alu depctr_sa_sdst(0)
	s_cmp_lt_i32 s0, s6
	s_cselect_b32 s8, -1, 0
	.loc	1 69 43 is_stmt 0               ; persistent_matmul.py:69:43
	s_wait_alu depctr_sa_sdst(0)
	s_and_b32 s9, s8, vcc_lo
	.loc	1 74 25 is_stmt 1               ; persistent_matmul.py:74:25
	s_wait_alu depctr_sa_sdst(0)
	s_and_saveexec_b32 s8, s9
	s_cbranch_execz .LBB0_147
; %bb.146:
	.loc	1 68 37                         ; persistent_matmul.py:68:37
	s_mul_i32 s10, s0, s2
	.loc	1 68 56 is_stmt 0               ; persistent_matmul.py:68:56
	s_wait_dscnt 0x7
	v_lshlrev_b64_e32 v[28:29], 2, v[32:33]
	.loc	1 68 25                         ; persistent_matmul.py:68:25
	s_wait_alu depctr_sa_sdst(0)
	s_ashr_i32 s11, s10, 31
	s_wait_alu depctr_sa_sdst(0)
	s_lshl_b64 s[10:11], s[10:11], 2
	s_wait_alu depctr_sa_sdst(0)
	s_add_nc_u64 s[10:11], s[4:5], s[10:11]
	.loc	1 68 56                         ; persistent_matmul.py:68:56
	s_wait_alu depctr_sa_sdst(0)
	v_add_co_u32 v28, s0, s10, v28
	s_wait_alu depctr_va_sdst(0)
	v_add_co_ci_u32_e64 v29, null, s11, v29, s0
	.loc	1 74 25 is_stmt 1               ; persistent_matmul.py:74:25
	s_wait_dscnt 0x6
	global_store_b32 v[28:29], v24, off
.LBB0_147:
	.loc	1 0 25 is_stmt 0                ; persistent_matmul.py:0:25
	s_wait_alu depctr_sa_sdst(0)
	s_or_b32 exec_lo, exec_lo, s8
	.loc	1 66 41 is_stmt 1               ; persistent_matmul.py:66:41
	s_or_b32 s0, s1, s25
	.loc	1 69 37                         ; persistent_matmul.py:69:37
	s_wait_alu depctr_sa_sdst(0)
	s_cmp_lt_i32 s0, s6
	s_cselect_b32 s8, -1, 0
	.loc	1 69 43 is_stmt 0               ; persistent_matmul.py:69:43
	s_wait_alu depctr_sa_sdst(0)
	s_and_b32 s9, s8, vcc_lo
	.loc	1 74 25 is_stmt 1               ; persistent_matmul.py:74:25
	s_wait_alu depctr_sa_sdst(0)
	s_and_saveexec_b32 s8, s9
	s_cbranch_execz .LBB0_149
; %bb.148:
	.loc	1 68 37                         ; persistent_matmul.py:68:37
	s_mul_i32 s10, s0, s2
	.loc	1 68 56 is_stmt 0               ; persistent_matmul.py:68:56
	s_wait_dscnt 0x7
	v_lshlrev_b64_e32 v[28:29], 2, v[32:33]
	.loc	1 68 25                         ; persistent_matmul.py:68:25
	s_wait_alu depctr_sa_sdst(0)
	s_ashr_i32 s11, s10, 31
	s_wait_alu depctr_sa_sdst(0)
	s_lshl_b64 s[10:11], s[10:11], 2
	s_wait_alu depctr_sa_sdst(0)
	s_add_nc_u64 s[10:11], s[4:5], s[10:11]
	.loc	1 68 56                         ; persistent_matmul.py:68:56
	s_wait_alu depctr_sa_sdst(0)
	v_add_co_u32 v28, s0, s10, v28
	s_wait_alu depctr_va_sdst(0)
	v_add_co_ci_u32_e64 v29, null, s11, v29, s0
	.loc	1 74 25 is_stmt 1               ; persistent_matmul.py:74:25
	s_wait_dscnt 0x6
	global_store_b32 v[28:29], v25, off
.LBB0_149:
	;; [unrolled: 38-line block ×14, first 2 shown]
	.loc	1 0 25 is_stmt 0                ; persistent_matmul.py:0:25
	s_wait_alu depctr_sa_sdst(0)
	s_or_b32 exec_lo, exec_lo, s8
	.loc	1 66 41 is_stmt 1               ; persistent_matmul.py:66:41
	s_or_b32 s0, s1, s42
	.loc	1 69 37                         ; persistent_matmul.py:69:37
	s_wait_alu depctr_sa_sdst(0)
	s_cmp_lt_i32 s0, s6
	s_cselect_b32 s8, -1, 0
	.loc	1 69 43 is_stmt 0               ; persistent_matmul.py:69:43
	s_wait_alu depctr_sa_sdst(0)
	s_and_b32 s9, s8, vcc_lo
	.loc	1 74 25 is_stmt 1               ; persistent_matmul.py:74:25
	s_wait_alu depctr_sa_sdst(0)
	s_and_saveexec_b32 s8, s9
	s_cbranch_execz .LBB0_175
; %bb.174:
	.loc	1 68 37                         ; persistent_matmul.py:68:37
	s_mul_i32 s10, s0, s2
	.loc	1 68 56 is_stmt 0               ; persistent_matmul.py:68:56
	s_wait_dscnt 0x0
	v_lshlrev_b64_e32 v[0:1], 2, v[32:33]
	.loc	1 68 25                         ; persistent_matmul.py:68:25
	s_wait_alu depctr_sa_sdst(0)
	s_ashr_i32 s11, s10, 31
	s_wait_alu depctr_sa_sdst(0)
	s_lshl_b64 s[10:11], s[10:11], 2
	s_wait_alu depctr_sa_sdst(0)
	s_add_nc_u64 s[10:11], s[4:5], s[10:11]
	.loc	1 68 56                         ; persistent_matmul.py:68:56
	s_wait_alu depctr_sa_sdst(0)
	v_add_co_u32 v0, s0, s10, v0
	s_wait_alu depctr_va_sdst(0)
	v_add_co_ci_u32_e64 v1, null, s11, v1, s0
	.loc	1 74 25 is_stmt 1               ; persistent_matmul.py:74:25
	global_store_b32 v[0:1], v30, off
.LBB0_175:
	.loc	1 0 25 is_stmt 0                ; persistent_matmul.py:0:25
	s_wait_alu depctr_sa_sdst(0)
	s_or_b32 exec_lo, exec_lo, s8
	.loc	1 66 41 is_stmt 1               ; persistent_matmul.py:66:41
	s_or_b32 s0, s1, s43
	.loc	1 69 37                         ; persistent_matmul.py:69:37
	s_wait_alu depctr_sa_sdst(0)
	s_cmp_lt_i32 s0, s6
	s_cselect_b32 s8, -1, 0
	.loc	1 69 43 is_stmt 0               ; persistent_matmul.py:69:43
	s_wait_alu depctr_sa_sdst(0)
	s_and_b32 s9, s8, vcc_lo
	.loc	1 74 25 is_stmt 1               ; persistent_matmul.py:74:25
	s_wait_alu depctr_sa_sdst(0)
	s_and_saveexec_b32 s8, s9
	s_cbranch_execz .LBB0_177
; %bb.176:
	.loc	1 68 37                         ; persistent_matmul.py:68:37
	s_mul_i32 s10, s0, s2
	.loc	1 68 56 is_stmt 0               ; persistent_matmul.py:68:56
	s_wait_dscnt 0x0
	v_lshlrev_b64_e32 v[0:1], 2, v[32:33]
	.loc	1 68 25                         ; persistent_matmul.py:68:25
	s_wait_alu depctr_sa_sdst(0)
	s_ashr_i32 s11, s10, 31
	s_wait_alu depctr_sa_sdst(0)
	s_lshl_b64 s[10:11], s[10:11], 2
	s_wait_alu depctr_sa_sdst(0)
	s_add_nc_u64 s[10:11], s[4:5], s[10:11]
	.loc	1 68 56                         ; persistent_matmul.py:68:56
	s_wait_alu depctr_sa_sdst(0)
	v_add_co_u32 v0, s0, s10, v0
	s_wait_alu depctr_va_sdst(0)
	v_add_co_ci_u32_e64 v1, null, s11, v1, s0
	.loc	1 74 25 is_stmt 1               ; persistent_matmul.py:74:25
	global_store_b32 v[0:1], v31, off
.LBB0_177:
	;; [unrolled: 37-line block ×15, first 2 shown]
	.loc	1 0 25 is_stmt 0                ; persistent_matmul.py:0:25
	s_wait_alu depctr_sa_sdst(0)
	s_or_b32 exec_lo, exec_lo, s8
	.loc	1 66 41 is_stmt 1               ; persistent_matmul.py:66:41
	s_or_b32 s1, s1, s57
	.loc	1 69 37                         ; persistent_matmul.py:69:37
	s_wait_alu depctr_sa_sdst(0)
	s_cmp_lt_i32 s1, s6
	s_cselect_b32 s0, -1, 0
	.loc	1 69 43 is_stmt 0               ; persistent_matmul.py:69:43
	s_wait_alu depctr_sa_sdst(0)
	s_and_b32 s8, s0, vcc_lo
	.loc	1 74 25 is_stmt 1               ; persistent_matmul.py:74:25
	s_wait_alu depctr_sa_sdst(0)
	s_and_saveexec_b32 s0, s8
	s_cbranch_execz .LBB0_205
; %bb.204:
	.loc	1 68 37                         ; persistent_matmul.py:68:37
	s_mul_i32 s8, s1, s2
	.loc	1 68 56 is_stmt 0               ; persistent_matmul.py:68:56
	s_wait_dscnt 0x0
	v_lshlrev_b64_e32 v[0:1], 2, v[32:33]
	.loc	1 68 25                         ; persistent_matmul.py:68:25
	s_wait_alu depctr_sa_sdst(0)
	s_ashr_i32 s9, s8, 31
	s_wait_alu depctr_sa_sdst(0)
	s_lshl_b64 s[8:9], s[8:9], 2
	s_wait_alu depctr_sa_sdst(0)
	s_add_nc_u64 s[8:9], s[4:5], s[8:9]
	.loc	1 68 56                         ; persistent_matmul.py:68:56
	s_wait_alu depctr_sa_sdst(0)
	v_add_co_u32 v0, vcc_lo, s8, v0
	s_wait_alu depctr_va_vcc(0)
	v_add_co_ci_u32_e64 v1, null, s9, v1, vcc_lo
	.loc	1 74 25 is_stmt 1               ; persistent_matmul.py:74:25
	global_store_b32 v[0:1], v3, off
.LBB0_205:                              ; %Flow
	.loc	1 0 25 is_stmt 0                ; persistent_matmul.py:0:25
	s_wait_alu depctr_sa_sdst(0)
	s_or_b32 exec_lo, exec_lo, s0
.LBB0_206:                              ; %Flow193
	s_mov_b32 s8, 0
.LBB0_207:                              ; %Flow199
	s_wait_alu depctr_sa_sdst(0)
	s_and_b32 vcc_lo, exec_lo, s8
	s_wait_alu depctr_sa_sdst(0)
	s_cbranch_vccz .LBB0_275
; %bb.208:                              ; %.preheader
	.loc	1 43 59 is_stmt 1               ; persistent_matmul.py:43:59
	s_cmp_le_i32 s37, ttmp9
	s_cbranch_scc1 .LBB0_275
; %bb.209:                              ; %.lr.ph11.preheader
	.loc	1 0 59 is_stmt 0                ; persistent_matmul.py:0:59
	s_abs_i32 s11, s38
	s_wait_dscnt 0x0
	v_mov_b32_e32 v2, 0
	s_wait_alu depctr_sa_sdst(0)
	s_cvt_f32_u32 s0, s11
	s_sub_co_i32 s8, 0, s11
	s_mov_b32 s1, 0
	s_wait_alu depctr_sa_sdst(0)
	s_mov_b32 s10, ttmp9
	v_rcp_iflag_f32_e32 v0, s0
	s_ashr_i32 s12, s38, 31
	s_mov_b32 s9, s1
.Ltmp88:
	.loc	1 14 44 is_stmt 1               ; persistent_matmul.py:14:44 @[ persistent_matmul.py:65:90 ]
	s_sub_co_i32 s13, 0, s38
	s_delay_alu instid0(TRANS32_DEP_1) | instskip(SKIP_2) | instid1(SALU_CYCLE_2)
	v_readfirstlane_b32 s0, v0
	s_mul_f32 s0, s0, 0x4f7ffffe
	s_wait_alu depctr_sa_sdst(0)
	s_cvt_u32_f32 s0, s0
	s_wait_alu depctr_sa_sdst(0)
	s_delay_alu instid0(SALU_CYCLE_2)
	s_mul_i32 s8, s8, s0
	s_wait_alu depctr_sa_sdst(0)
	s_mul_hi_u32 s8, s0, s8
	s_wait_alu depctr_sa_sdst(0)
	s_add_co_i32 s8, s0, s8
	s_branch .LBB0_211
.Ltmp89:
.LBB0_210:                              ;   in Loop: Header=BB0_211 Depth=1
	.loc	1 0 44 is_stmt 0                ; persistent_matmul.py:0:44
	s_wait_alu depctr_sa_sdst(0)
	s_or_b32 exec_lo, exec_lo, s0
	.loc	1 43 59 is_stmt 1               ; persistent_matmul.py:43:59
	s_addk_co_i32 s10, 0x68
	s_wait_alu depctr_sa_sdst(0)
	s_cmp_ge_i32 s10, s37
	s_cbranch_scc1 .LBB0_275
.LBB0_211:                              ; %.lr.ph11
                                        ; =>This Inner Loop Header: Depth=1
.Ltmp90:
	.loc	1 10 26                         ; persistent_matmul.py:10:26 @[ persistent_matmul.py:65:90 ]
	s_abs_i32 s0, s10
	s_wait_alu depctr_sa_sdst(0)
	s_mul_u64 s[14:15], s[0:1], s[8:9]
	s_ashr_i32 s14, s10, 31
	s_wait_alu depctr_sa_sdst(0)
	s_mul_i32 s16, s15, s11
	s_xor_b32 s17, s14, s12
	s_wait_alu depctr_sa_sdst(0)
	s_sub_co_i32 s16, s0, s16
	s_add_co_i32 s18, s15, 1
	s_wait_alu depctr_sa_sdst(0)
	s_sub_co_i32 s19, s16, s11
	s_cmp_ge_u32 s16, s11
	s_cselect_b32 s15, s18, s15
	s_wait_alu depctr_sa_sdst(0)
	s_cselect_b32 s16, s19, s16
	s_add_co_i32 s18, s15, 1
	s_wait_alu depctr_sa_sdst(0)
	s_cmp_ge_u32 s16, s11
	s_cselect_b32 s15, s18, s15
	s_wait_alu depctr_sa_sdst(0)
	s_xor_b32 s15, s15, s17
	s_wait_alu depctr_sa_sdst(0)
	s_sub_co_i32 s15, s15, s17
	.loc	1 11 29                         ; persistent_matmul.py:11:29 @[ persistent_matmul.py:65:90 ]
	s_wait_alu depctr_sa_sdst(0)
	s_lshl_b32 s16, s15, 3
	.loc	1 14 44                         ; persistent_matmul.py:14:44 @[ persistent_matmul.py:65:90 ]
	s_mul_i32 s21, s13, s15
	.loc	1 12 35                         ; persistent_matmul.py:12:35 @[ persistent_matmul.py:65:90 ]
	s_wait_alu depctr_sa_sdst(0)
	s_sub_co_i32 s17, s36, s16
	.loc	1 14 23                         ; persistent_matmul.py:14:23 @[ persistent_matmul.py:65:90 ]
	s_mul_i32 s15, s15, s38
	.loc	1 12 48                         ; persistent_matmul.py:12:48 @[ persistent_matmul.py:65:90 ]
	s_wait_alu depctr_sa_sdst(0)
	s_min_i32 s17, s17, 8
	.loc	1 13 37                         ; persistent_matmul.py:13:37 @[ persistent_matmul.py:65:90 ]
	s_wait_alu depctr_sa_sdst(0)
	s_abs_i32 s18, s17
	s_ashr_i32 s17, s17, 31
	s_wait_alu depctr_sa_sdst(0)
	s_cvt_f32_u32 s19, s18
	s_sub_co_i32 s20, 0, s18
	s_wait_alu depctr_sa_sdst(0)
	s_delay_alu instid0(SALU_CYCLE_1) | instskip(NEXT) | instid1(TRANS32_DEP_1)
	v_rcp_iflag_f32_e32 v0, s19
	v_readfirstlane_b32 s19, v0
	s_mul_f32 s19, s19, 0x4f7ffffe
	s_wait_alu depctr_sa_sdst(0)
	s_delay_alu instid0(SALU_CYCLE_2) | instskip(SKIP_1) | instid1(SALU_CYCLE_2)
	s_cvt_u32_f32 s19, s19
	s_wait_alu depctr_sa_sdst(0)
	s_mul_i32 s20, s20, s19
	s_wait_alu depctr_sa_sdst(0)
	s_mul_hi_u32 s20, s19, s20
	s_wait_alu depctr_sa_sdst(0)
	s_add_co_i32 s19, s19, s20
	s_wait_alu depctr_sa_sdst(0)
	s_mul_hi_u32 s20, s0, s19
	s_wait_alu depctr_sa_sdst(0)
	s_mul_i32 s20, s20, s18
	s_wait_alu depctr_sa_sdst(0)
	s_sub_co_i32 s0, s0, s20
	s_wait_alu depctr_sa_sdst(0)
	s_sub_co_i32 s20, s0, s18
	s_cmp_ge_u32 s0, s18
	s_wait_alu depctr_sa_sdst(0)
	s_cselect_b32 s0, s20, s0
	s_wait_alu depctr_sa_sdst(0)
	s_sub_co_i32 s20, s0, s18
	s_cmp_ge_u32 s0, s18
	s_wait_alu depctr_sa_sdst(0)
	s_cselect_b32 s0, s20, s0
	.loc	1 14 44                         ; persistent_matmul.py:14:44 @[ persistent_matmul.py:65:90 ]
	s_add_co_i32 s20, s10, s21
	.loc	1 13 37                         ; persistent_matmul.py:13:37 @[ persistent_matmul.py:65:90 ]
	s_wait_alu depctr_sa_sdst(0)
	s_xor_b32 s0, s0, s14
	.loc	1 14 44                         ; persistent_matmul.py:14:44 @[ persistent_matmul.py:65:90 ]
	s_ashr_i32 s20, s20, 31
	.loc	1 13 37                         ; persistent_matmul.py:13:37 @[ persistent_matmul.py:65:90 ]
	s_wait_alu depctr_sa_sdst(0)
	s_sub_co_i32 s0, s0, s14
	.loc	1 14 44                         ; persistent_matmul.py:14:44 @[ persistent_matmul.py:65:90 ]
	s_sub_co_i32 s15, s20, s15
	.loc	1 13 27                         ; persistent_matmul.py:13:27 @[ persistent_matmul.py:65:90 ]
	s_wait_alu depctr_sa_sdst(0)
	s_add_co_i32 s16, s16, s0
	.loc	1 14 44                         ; persistent_matmul.py:14:44 @[ persistent_matmul.py:65:90 ]
	s_add_co_i32 s15, s10, s15
	s_xor_b32 s17, s20, s17
	s_wait_alu depctr_sa_sdst(0)
	s_xor_b32 s15, s15, s20
	s_wait_alu depctr_sa_sdst(0)
	s_mul_hi_u32 s14, s15, s19
	s_wait_alu depctr_sa_sdst(0)
	s_mul_i32 s0, s14, s18
	s_wait_alu depctr_sa_sdst(0)
	s_sub_co_i32 s0, s15, s0
	s_add_co_i32 s15, s14, 1
	s_wait_alu depctr_sa_sdst(0)
	s_sub_co_i32 s19, s0, s18
	s_cmp_ge_u32 s0, s18
	s_cselect_b32 s14, s15, s14
	s_wait_alu depctr_sa_sdst(0)
	s_cselect_b32 s0, s19, s0
	s_add_co_i32 s15, s14, 1
	s_wait_alu depctr_sa_sdst(0)
	s_cmp_ge_u32 s0, s18
	s_cselect_b32 s0, s15, s14
.Ltmp91:
	.loc	1 66 26                         ; persistent_matmul.py:66:26
	s_lshl_b32 s14, s16, 6
.Ltmp92:
	.loc	1 14 44                         ; persistent_matmul.py:14:44 @[ persistent_matmul.py:65:90 ]
	s_wait_alu depctr_sa_sdst(0)
	s_xor_b32 s0, s0, s17
	s_wait_alu depctr_sa_sdst(0)
	s_sub_co_i32 s0, s0, s17
.Ltmp93:
	.loc	1 67 41                         ; persistent_matmul.py:67:41
	s_wait_alu depctr_sa_sdst(0)
	v_lshl_or_b32 v1, s0, 6, v177
	.loc	1 66 41                         ; persistent_matmul.py:66:41
	s_or_b32 s0, s14, s22
	.loc	1 69 37                         ; persistent_matmul.py:69:37
	s_wait_alu depctr_sa_sdst(0)
	s_cmp_lt_i32 s0, s6
	s_delay_alu instid0(VALU_DEP_1) | instskip(SKIP_4) | instid1(VALU_DEP_2)
	.loc	1 68 68                         ; persistent_matmul.py:68:68
	v_mul_lo_u32 v0, v1, s3
	.loc	1 69 62                         ; persistent_matmul.py:69:62
	v_cmp_gt_i32_e32 vcc_lo, s7, v1
	.loc	1 69 37 is_stmt 0               ; persistent_matmul.py:69:37
	s_cselect_b32 s15, -1, 0
	.loc	1 69 43                         ; persistent_matmul.py:69:43
	s_wait_alu depctr_sa_sdst(0)
	s_and_b32 s16, s15, vcc_lo
	.loc	1 68 56 is_stmt 1               ; persistent_matmul.py:68:56
	v_ashrrev_i32_e32 v1, 31, v0
	.loc	1 74 25                         ; persistent_matmul.py:74:25
	s_wait_alu depctr_sa_sdst(0)
	s_and_saveexec_b32 s15, s16
	s_cbranch_execz .LBB0_213
; %bb.212:                              ;   in Loop: Header=BB0_211 Depth=1
	.loc	1 0 25 is_stmt 0                ; persistent_matmul.py:0:25
	s_mul_i32 s16, s0, s2
	v_lshlrev_b64_e32 v[3:4], 2, v[0:1]
	s_wait_alu depctr_sa_sdst(0)
	s_ashr_i32 s17, s16, 31
	s_wait_alu depctr_sa_sdst(0)
	s_lshl_b64 s[16:17], s[16:17], 2
	s_wait_alu depctr_sa_sdst(0)
	s_add_nc_u64 s[16:17], s[4:5], s[16:17]
	s_wait_alu depctr_sa_sdst(0)
	v_add_co_u32 v3, s0, s16, v3
	s_wait_alu depctr_va_sdst(0)
	v_add_co_ci_u32_e64 v4, null, s17, v4, s0
	.loc	1 74 25                         ; persistent_matmul.py:74:25
	global_store_b32 v[3:4], v2, off
.LBB0_213:                              ;   in Loop: Header=BB0_211 Depth=1
	.loc	1 0 25                          ; persistent_matmul.py:0:25
	s_wait_alu depctr_sa_sdst(0)
	s_or_b32 exec_lo, exec_lo, s15
	.loc	1 66 41 is_stmt 1               ; persistent_matmul.py:66:41
	s_or_b32 s0, s14, s23
	.loc	1 69 37                         ; persistent_matmul.py:69:37
	s_wait_alu depctr_sa_sdst(0)
	s_cmp_lt_i32 s0, s6
	s_cselect_b32 s15, -1, 0
	.loc	1 69 43 is_stmt 0               ; persistent_matmul.py:69:43
	s_wait_alu depctr_sa_sdst(0)
	s_and_b32 s16, s15, vcc_lo
	.loc	1 74 25 is_stmt 1               ; persistent_matmul.py:74:25
	s_wait_alu depctr_sa_sdst(0)
	s_and_saveexec_b32 s15, s16
	s_cbranch_execz .LBB0_215
; %bb.214:                              ;   in Loop: Header=BB0_211 Depth=1
	.loc	1 68 37                         ; persistent_matmul.py:68:37
	s_mul_i32 s16, s0, s2
	.loc	1 68 56 is_stmt 0               ; persistent_matmul.py:68:56
	v_lshlrev_b64_e32 v[3:4], 2, v[0:1]
	.loc	1 68 25                         ; persistent_matmul.py:68:25
	s_wait_alu depctr_sa_sdst(0)
	s_ashr_i32 s17, s16, 31
	s_wait_alu depctr_sa_sdst(0)
	s_lshl_b64 s[16:17], s[16:17], 2
	s_wait_alu depctr_sa_sdst(0)
	s_add_nc_u64 s[16:17], s[4:5], s[16:17]
	.loc	1 68 56                         ; persistent_matmul.py:68:56
	s_wait_alu depctr_sa_sdst(0)
	v_add_co_u32 v3, s0, s16, v3
	s_wait_alu depctr_va_sdst(0)
	v_add_co_ci_u32_e64 v4, null, s17, v4, s0
	.loc	1 74 25 is_stmt 1               ; persistent_matmul.py:74:25
	global_store_b32 v[3:4], v2, off
.LBB0_215:                              ;   in Loop: Header=BB0_211 Depth=1
	.loc	1 0 25 is_stmt 0                ; persistent_matmul.py:0:25
	s_wait_alu depctr_sa_sdst(0)
	s_or_b32 exec_lo, exec_lo, s15
	.loc	1 66 41 is_stmt 1               ; persistent_matmul.py:66:41
	s_or_b32 s0, s14, s24
	.loc	1 69 37                         ; persistent_matmul.py:69:37
	s_wait_alu depctr_sa_sdst(0)
	s_cmp_lt_i32 s0, s6
	s_cselect_b32 s15, -1, 0
	.loc	1 69 43 is_stmt 0               ; persistent_matmul.py:69:43
	s_wait_alu depctr_sa_sdst(0)
	s_and_b32 s16, s15, vcc_lo
	.loc	1 74 25 is_stmt 1               ; persistent_matmul.py:74:25
	s_wait_alu depctr_sa_sdst(0)
	s_and_saveexec_b32 s15, s16
	s_cbranch_execz .LBB0_217
; %bb.216:                              ;   in Loop: Header=BB0_211 Depth=1
	.loc	1 68 37                         ; persistent_matmul.py:68:37
	s_mul_i32 s16, s0, s2
	.loc	1 68 56 is_stmt 0               ; persistent_matmul.py:68:56
	v_lshlrev_b64_e32 v[3:4], 2, v[0:1]
	.loc	1 68 25                         ; persistent_matmul.py:68:25
	s_wait_alu depctr_sa_sdst(0)
	s_ashr_i32 s17, s16, 31
	s_wait_alu depctr_sa_sdst(0)
	s_lshl_b64 s[16:17], s[16:17], 2
	s_wait_alu depctr_sa_sdst(0)
	s_add_nc_u64 s[16:17], s[4:5], s[16:17]
	.loc	1 68 56                         ; persistent_matmul.py:68:56
	s_wait_alu depctr_sa_sdst(0)
	v_add_co_u32 v3, s0, s16, v3
	s_wait_alu depctr_va_sdst(0)
	v_add_co_ci_u32_e64 v4, null, s17, v4, s0
	.loc	1 74 25 is_stmt 1               ; persistent_matmul.py:74:25
	global_store_b32 v[3:4], v2, off
.LBB0_217:                              ;   in Loop: Header=BB0_211 Depth=1
	.loc	1 0 25 is_stmt 0                ; persistent_matmul.py:0:25
	;; [unrolled: 36-line block ×30, first 2 shown]
	s_wait_alu depctr_sa_sdst(0)
	s_or_b32 exec_lo, exec_lo, s15
	.loc	1 66 41 is_stmt 1               ; persistent_matmul.py:66:41
	s_or_b32 s14, s14, s57
	.loc	1 69 37                         ; persistent_matmul.py:69:37
	s_wait_alu depctr_sa_sdst(0)
	s_cmp_lt_i32 s14, s6
	s_cselect_b32 s0, -1, 0
	.loc	1 69 43 is_stmt 0               ; persistent_matmul.py:69:43
	s_wait_alu depctr_sa_sdst(0)
	s_and_b32 s15, s0, vcc_lo
	.loc	1 74 25 is_stmt 1               ; persistent_matmul.py:74:25
	s_wait_alu depctr_sa_sdst(0)
	s_and_saveexec_b32 s0, s15
	s_cbranch_execz .LBB0_210
; %bb.274:                              ;   in Loop: Header=BB0_211 Depth=1
	.loc	1 68 37                         ; persistent_matmul.py:68:37
	s_mul_i32 s14, s14, s2
	.loc	1 68 56 is_stmt 0               ; persistent_matmul.py:68:56
	v_lshlrev_b64_e32 v[0:1], 2, v[0:1]
	.loc	1 68 25                         ; persistent_matmul.py:68:25
	s_wait_alu depctr_sa_sdst(0)
	s_ashr_i32 s15, s14, 31
	s_wait_alu depctr_sa_sdst(0)
	s_lshl_b64 s[14:15], s[14:15], 2
	s_wait_alu depctr_sa_sdst(0)
	s_add_nc_u64 s[14:15], s[4:5], s[14:15]
	.loc	1 68 56                         ; persistent_matmul.py:68:56
	s_wait_alu depctr_sa_sdst(0)
	v_add_co_u32 v0, vcc_lo, s14, v0
	s_wait_alu depctr_va_vcc(0)
	v_add_co_ci_u32_e64 v1, null, s15, v1, vcc_lo
	.loc	1 74 25 is_stmt 1               ; persistent_matmul.py:74:25
	global_store_b32 v[0:1], v2, off
	s_branch .LBB0_210
.LBB0_275:                              ; %.loopexit
	.loc	1 43 4                          ; persistent_matmul.py:43:4
	s_nop 0
	s_sendmsg sendmsg(MSG_DEALLOC_VGPRS)
	s_endpgm
.Ltmp94:
	.section	.rodata,"a",@progbits
	.p2align	6, 0x0
	.amdhsa_kernel matmul_kernel_persistent
		.amdhsa_group_segment_fixed_size 0
		.amdhsa_private_segment_fixed_size 0
		.amdhsa_kernarg_size 80
		.amdhsa_user_sgpr_count 2
		.amdhsa_user_sgpr_dispatch_ptr 0
		.amdhsa_user_sgpr_queue_ptr 0
		.amdhsa_user_sgpr_kernarg_segment_ptr 1
		.amdhsa_user_sgpr_dispatch_id 0
		.amdhsa_user_sgpr_private_segment_size 0
		.amdhsa_wavefront_size32 1
		.amdhsa_uses_dynamic_stack 0
		.amdhsa_enable_private_segment 0
		.amdhsa_system_sgpr_workgroup_id_x 1
		.amdhsa_system_sgpr_workgroup_id_y 1
		.amdhsa_system_sgpr_workgroup_id_z 1
		.amdhsa_system_sgpr_workgroup_info 0
		.amdhsa_system_vgpr_workitem_id 0
		.amdhsa_next_free_vgpr 230
		.amdhsa_next_free_sgpr 76
		.amdhsa_reserve_vcc 1
		.amdhsa_float_round_mode_32 0
		.amdhsa_float_round_mode_16_64 0
		.amdhsa_float_denorm_mode_32 3
		.amdhsa_float_denorm_mode_16_64 3
		.amdhsa_fp16_overflow 0
		.amdhsa_workgroup_processor_mode 1
		.amdhsa_memory_ordered 1
		.amdhsa_forward_progress 1
		.amdhsa_inst_pref_size 187
		.amdhsa_round_robin_scheduling 0
		.amdhsa_exception_fp_ieee_invalid_op 0
		.amdhsa_exception_fp_denorm_src 0
		.amdhsa_exception_fp_ieee_div_zero 0
		.amdhsa_exception_fp_ieee_overflow 0
		.amdhsa_exception_fp_ieee_underflow 0
		.amdhsa_exception_fp_ieee_inexact 0
		.amdhsa_exception_int_div_zero 0
	.end_amdhsa_kernel
	.text
.Lfunc_end0:
	.size	matmul_kernel_persistent, .Lfunc_end0-matmul_kernel_persistent
	.cfi_endproc
                                        ; -- End function
	.set matmul_kernel_persistent.num_vgpr, 230
	.set matmul_kernel_persistent.num_agpr, 0
	.set matmul_kernel_persistent.numbered_sgpr, 76
	.set matmul_kernel_persistent.num_named_barrier, 0
	.set matmul_kernel_persistent.private_seg_size, 0
	.set matmul_kernel_persistent.uses_vcc, 1
	.set matmul_kernel_persistent.uses_flat_scratch, 0
	.set matmul_kernel_persistent.has_dyn_sized_stack, 0
	.set matmul_kernel_persistent.has_recursion, 0
	.set matmul_kernel_persistent.has_indirect_call, 0
	.section	.AMDGPU.csdata,"",@progbits
; Kernel info:
; codeLenInByte = 23896
; TotalNumSgprs: 78
; NumVgprs: 230
; ScratchSize: 0
; MemoryBound: 0
; FloatMode: 240
; IeeeMode: 1
; LDSByteSize: 0 bytes/workgroup (compile time only)
; SGPRBlocks: 0
; VGPRBlocks: 28
; NumSGPRsForWavesPerEU: 78
; NumVGPRsForWavesPerEU: 230
; Occupancy: 6
; WaveLimiterHint : 0
; COMPUTE_PGM_RSRC2:SCRATCH_EN: 0
; COMPUTE_PGM_RSRC2:USER_SGPR: 2
; COMPUTE_PGM_RSRC2:TRAP_HANDLER: 0
; COMPUTE_PGM_RSRC2:TGID_X_EN: 1
; COMPUTE_PGM_RSRC2:TGID_Y_EN: 1
; COMPUTE_PGM_RSRC2:TGID_Z_EN: 1
; COMPUTE_PGM_RSRC2:TIDIG_COMP_CNT: 0
	.text
	.p2alignl 7, 3214868480
	.fill 96, 4, 3214868480
	.section	.AMDGPU.gpr_maximums,"",@progbits
	.set amdgpu.max_num_vgpr, 0
	.set amdgpu.max_num_agpr, 0
	.set amdgpu.max_num_sgpr, 0
	.set amdgpu.max_num_named_barrier, 0
	.text
	.section	.debug_abbrev,"",@progbits
	.byte	1                               ; Abbreviation Code
	.byte	17                              ; DW_TAG_compile_unit
	.byte	1                               ; DW_CHILDREN_yes
	.byte	37                              ; DW_AT_producer
	.byte	14                              ; DW_FORM_strp
	.byte	19                              ; DW_AT_language
	.byte	5                               ; DW_FORM_data2
	.byte	3                               ; DW_AT_name
	.byte	14                              ; DW_FORM_strp
	.byte	16                              ; DW_AT_stmt_list
	.byte	23                              ; DW_FORM_sec_offset
	.byte	27                              ; DW_AT_comp_dir
	.byte	14                              ; DW_FORM_strp
	.byte	17                              ; DW_AT_low_pc
	.byte	1                               ; DW_FORM_addr
	.byte	18                              ; DW_AT_high_pc
	.byte	6                               ; DW_FORM_data4
	.byte	0                               ; EOM(1)
	.byte	0                               ; EOM(2)
	.byte	2                               ; Abbreviation Code
	.byte	46                              ; DW_TAG_subprogram
	.byte	0                               ; DW_CHILDREN_no
	.byte	3                               ; DW_AT_name
	.byte	14                              ; DW_FORM_strp
	.byte	32                              ; DW_AT_inline
	.byte	11                              ; DW_FORM_data1
	.byte	0                               ; EOM(1)
	.byte	0                               ; EOM(2)
	.byte	3                               ; Abbreviation Code
	.byte	46                              ; DW_TAG_subprogram
	.byte	1                               ; DW_CHILDREN_yes
	.byte	17                              ; DW_AT_low_pc
	.byte	1                               ; DW_FORM_addr
	.byte	18                              ; DW_AT_high_pc
	.byte	6                               ; DW_FORM_data4
	.byte	49                              ; DW_AT_abstract_origin
	.byte	19                              ; DW_FORM_ref4
	.byte	0                               ; EOM(1)
	.byte	0                               ; EOM(2)
	.byte	4                               ; Abbreviation Code
	.byte	29                              ; DW_TAG_inlined_subroutine
	.byte	0                               ; DW_CHILDREN_no
	.byte	49                              ; DW_AT_abstract_origin
	.byte	19                              ; DW_FORM_ref4
	.byte	85                              ; DW_AT_ranges
	.byte	23                              ; DW_FORM_sec_offset
	.byte	88                              ; DW_AT_call_file
	.byte	11                              ; DW_FORM_data1
	.byte	89                              ; DW_AT_call_line
	.byte	11                              ; DW_FORM_data1
	.byte	87                              ; DW_AT_call_column
	.byte	11                              ; DW_FORM_data1
	.byte	0                               ; EOM(1)
	.byte	0                               ; EOM(2)
	;; [unrolled: 1-line block ×3, first 2 shown]
	.section	.debug_info,"",@progbits
.Lcu_begin0:
	.long	.Ldebug_info_end0-.Ldebug_info_start0 ; Length of Unit
.Ldebug_info_start0:
	.short	4                               ; DWARF version number
	.long	.debug_abbrev                   ; Offset Into Abbrev. Section
	.byte	8                               ; Address Size (in bytes)
	.byte	1                               ; Abbrev [1] 0xb:0x74 DW_TAG_compile_unit
	.long	.Linfo_string0                  ; DW_AT_producer
	.short	2                               ; DW_AT_language
	.long	.Linfo_string1                  ; DW_AT_name
	.long	.Lline_table_start0             ; DW_AT_stmt_list
	.long	.Linfo_string2                  ; DW_AT_comp_dir
	.quad	.Lfunc_begin0                   ; DW_AT_low_pc
	.long	.Lfunc_end0-.Lfunc_begin0       ; DW_AT_high_pc
	.byte	2                               ; Abbrev [2] 0x2a:0x6 DW_TAG_subprogram
	.long	.Linfo_string3                  ; DW_AT_name
	.byte	1                               ; DW_AT_inline
	.byte	3                               ; Abbrev [3] 0x30:0x4e DW_TAG_subprogram
	.quad	.Lfunc_begin0                   ; DW_AT_low_pc
	.long	.Lfunc_end0-.Lfunc_begin0       ; DW_AT_high_pc
	.long	42                              ; DW_AT_abstract_origin
	.byte	4                               ; Abbrev [4] 0x41:0xc DW_TAG_inlined_subroutine
	.long	42                              ; DW_AT_abstract_origin
	.long	.Ldebug_ranges0                 ; DW_AT_ranges
	.byte	1                               ; DW_AT_call_file
	.byte	31                              ; DW_AT_call_line
	.byte	27                              ; DW_AT_call_column
	.byte	4                               ; Abbrev [4] 0x4d:0xc DW_TAG_inlined_subroutine
	.long	42                              ; DW_AT_abstract_origin
	.long	.Ldebug_ranges1                 ; DW_AT_ranges
	.byte	1                               ; DW_AT_call_file
	.byte	32                              ; DW_AT_call_line
	.byte	27                              ; DW_AT_call_column
	;; [unrolled: 6-line block ×5, first 2 shown]
	.byte	0                               ; End Of Children Mark
	.byte	0                               ; End Of Children Mark
.Ldebug_info_end0:
	.section	.debug_ranges,"",@progbits
.Ldebug_ranges0:
	.quad	.Ltmp1-.Lfunc_begin0
	.quad	.Ltmp2-.Lfunc_begin0
	;; [unrolled: 1-line block ×10, first 2 shown]
	.quad	0
	.quad	0
.Ldebug_ranges1:
	.quad	.Ltmp2-.Lfunc_begin0
	.quad	.Ltmp3-.Lfunc_begin0
	;; [unrolled: 1-line block ×10, first 2 shown]
	.quad	0
	.quad	0
.Ldebug_ranges2:
	.quad	.Ltmp12-.Lfunc_begin0
	.quad	.Ltmp13-.Lfunc_begin0
	;; [unrolled: 1-line block ×10, first 2 shown]
	.quad	0
	.quad	0
.Ldebug_ranges3:
	.quad	.Ltmp22-.Lfunc_begin0
	.quad	.Ltmp23-.Lfunc_begin0
	;; [unrolled: 1-line block ×10, first 2 shown]
	.quad	0
	.quad	0
.Ldebug_ranges4:
	.quad	.Ltmp32-.Lfunc_begin0
	.quad	.Ltmp33-.Lfunc_begin0
	.quad	.Ltmp34-.Lfunc_begin0
	.quad	.Ltmp35-.Lfunc_begin0
	.quad	.Ltmp36-.Lfunc_begin0
	.quad	.Ltmp37-.Lfunc_begin0
	.quad	.Ltmp38-.Lfunc_begin0
	.quad	.Ltmp39-.Lfunc_begin0
	.quad	.Ltmp40-.Lfunc_begin0
	.quad	.Ltmp41-.Lfunc_begin0
	.quad	.Ltmp42-.Lfunc_begin0
	.quad	.Ltmp43-.Lfunc_begin0
	.quad	.Ltmp44-.Lfunc_begin0
	.quad	.Ltmp45-.Lfunc_begin0
	.quad	.Ltmp46-.Lfunc_begin0
	.quad	.Ltmp47-.Lfunc_begin0
	.quad	.Ltmp48-.Lfunc_begin0
	.quad	.Ltmp49-.Lfunc_begin0
	.quad	.Ltmp50-.Lfunc_begin0
	.quad	.Ltmp51-.Lfunc_begin0
	.quad	.Ltmp52-.Lfunc_begin0
	.quad	.Ltmp53-.Lfunc_begin0
	.quad	.Ltmp54-.Lfunc_begin0
	.quad	.Ltmp55-.Lfunc_begin0
	.quad	.Ltmp56-.Lfunc_begin0
	.quad	.Ltmp57-.Lfunc_begin0
	.quad	.Ltmp58-.Lfunc_begin0
	.quad	.Ltmp59-.Lfunc_begin0
	.quad	.Ltmp60-.Lfunc_begin0
	.quad	.Ltmp61-.Lfunc_begin0
	.quad	.Ltmp62-.Lfunc_begin0
	.quad	.Ltmp63-.Lfunc_begin0
	.quad	.Ltmp64-.Lfunc_begin0
	.quad	.Ltmp65-.Lfunc_begin0
	.quad	.Ltmp66-.Lfunc_begin0
	.quad	.Ltmp67-.Lfunc_begin0
	.quad	.Ltmp68-.Lfunc_begin0
	.quad	.Ltmp69-.Lfunc_begin0
	.quad	.Ltmp70-.Lfunc_begin0
	.quad	.Ltmp71-.Lfunc_begin0
	.quad	.Ltmp72-.Lfunc_begin0
	.quad	.Ltmp73-.Lfunc_begin0
	.quad	.Ltmp74-.Lfunc_begin0
	.quad	.Ltmp75-.Lfunc_begin0
	.quad	.Ltmp76-.Lfunc_begin0
	.quad	.Ltmp77-.Lfunc_begin0
	.quad	.Ltmp78-.Lfunc_begin0
	.quad	.Ltmp79-.Lfunc_begin0
	.quad	.Ltmp80-.Lfunc_begin0
	.quad	.Ltmp81-.Lfunc_begin0
	.quad	.Ltmp82-.Lfunc_begin0
	.quad	.Ltmp83-.Lfunc_begin0
	.quad	.Ltmp84-.Lfunc_begin0
	.quad	.Ltmp85-.Lfunc_begin0
	.quad	.Ltmp86-.Lfunc_begin0
	.quad	.Ltmp87-.Lfunc_begin0
	.quad	.Ltmp88-.Lfunc_begin0
	.quad	.Ltmp89-.Lfunc_begin0
	.quad	.Ltmp90-.Lfunc_begin0
	.quad	.Ltmp91-.Lfunc_begin0
	.quad	.Ltmp92-.Lfunc_begin0
	.quad	.Ltmp93-.Lfunc_begin0
	.quad	0
	.quad	0
	.section	.debug_str,"MS",@progbits,1
.Linfo_string0:
	.asciz	"triton"                        ; string offset=0
.Linfo_string1:
	.asciz	"persistent_matmul.py"          ; string offset=7
.Linfo_string2:
	.asciz	"/root/src/amdgpu-assembly/repos/triton-lang__triton-aot" ; string offset=28
.Linfo_string3:
	.asciz	"matmul_kernel_persistent"      ; string offset=84
	.section	".note.GNU-stack","",@progbits
	.amdgpu_metadata
---
amdhsa.kernels:
  - .args:
      - .address_space:  global
        .offset:         0
        .size:           8
        .value_kind:     global_buffer
      - .address_space:  global
        .offset:         8
        .size:           8
        .value_kind:     global_buffer
      - .address_space:  global
        .offset:         16
        .size:           8
        .value_kind:     global_buffer
      - .offset:         24
        .size:           4
        .value_kind:     by_value
      - .offset:         28
        .size:           4
        .value_kind:     by_value
      - .offset:         32
        .size:           4
        .value_kind:     by_value
      - .offset:         36
        .size:           4
        .value_kind:     by_value
      - .offset:         40
        .size:           4
        .value_kind:     by_value
      - .offset:         44
        .size:           4
        .value_kind:     by_value
      - .offset:         48
        .size:           4
        .value_kind:     by_value
      - .offset:         52
        .size:           4
        .value_kind:     by_value
      - .offset:         56
        .size:           4
        .value_kind:     by_value
      - .address_space:  global
        .offset:         64
        .size:           8
        .value_kind:     global_buffer
      - .address_space:  global
        .offset:         72
        .size:           8
        .value_kind:     global_buffer
    .group_segment_fixed_size: 0
    .kernarg_segment_align: 8
    .kernarg_segment_size: 80
    .max_flat_workgroup_size: 128
    .name:           matmul_kernel_persistent
    .private_segment_fixed_size: 0
    .sgpr_count:     78
    .sgpr_spill_count: 0
    .symbol:         matmul_kernel_persistent.kd
    .uniform_work_group_size: 1
    .uses_dynamic_stack: false
    .vgpr_count:     230
    .vgpr_spill_count: 0
    .wavefront_size: 32
    .workgroup_processor_mode: 1
amdhsa.target:   amdgcn-amd-amdhsa--gfx1201
amdhsa.version:
  - 1
  - 2
...

	.end_amdgpu_metadata
	.section	.debug_line,"",@progbits
.Lline_table_start0:
